;; amdgpu-corpus repo=ROCm/rocFFT kind=compiled arch=gfx906 opt=O3
	.text
	.amdgcn_target "amdgcn-amd-amdhsa--gfx906"
	.amdhsa_code_object_version 6
	.protected	fft_rtc_fwd_len192_factors_4_4_2_2_3_wgs_252_tpt_12_dim3_sp_ip_CI_sbcc_twdbase8_3step_dirReg ; -- Begin function fft_rtc_fwd_len192_factors_4_4_2_2_3_wgs_252_tpt_12_dim3_sp_ip_CI_sbcc_twdbase8_3step_dirReg
	.globl	fft_rtc_fwd_len192_factors_4_4_2_2_3_wgs_252_tpt_12_dim3_sp_ip_CI_sbcc_twdbase8_3step_dirReg
	.p2align	8
	.type	fft_rtc_fwd_len192_factors_4_4_2_2_3_wgs_252_tpt_12_dim3_sp_ip_CI_sbcc_twdbase8_3step_dirReg,@function
fft_rtc_fwd_len192_factors_4_4_2_2_3_wgs_252_tpt_12_dim3_sp_ip_CI_sbcc_twdbase8_3step_dirReg: ; @fft_rtc_fwd_len192_factors_4_4_2_2_3_wgs_252_tpt_12_dim3_sp_ip_CI_sbcc_twdbase8_3step_dirReg
; %bb.0:
	s_load_dwordx4 s[0:3], s[4:5], 0x10
	s_mov_b32 s7, 0
	s_mov_b64 s[20:21], 0
	s_waitcnt lgkmcnt(0)
	s_load_dwordx2 s[10:11], s[0:1], 0x8
	s_waitcnt lgkmcnt(0)
	s_add_u32 s8, s10, -1
	s_addc_u32 s9, s11, -1
	s_add_u32 s12, 0, 0x30c26c00
	s_addc_u32 s13, 0, 44
	s_mul_hi_u32 s15, s12, 0xffffffeb
	s_add_i32 s13, s13, 0xc30c2e0
	s_sub_i32 s15, s15, s12
	s_mul_i32 s18, s13, 0xffffffeb
	s_mul_i32 s14, s12, 0xffffffeb
	s_add_i32 s15, s15, s18
	s_mul_hi_u32 s16, s13, s14
	s_mul_i32 s17, s13, s14
	s_mul_i32 s19, s12, s15
	s_mul_hi_u32 s14, s12, s14
	s_mul_hi_u32 s18, s12, s15
	s_add_u32 s14, s14, s19
	s_addc_u32 s18, 0, s18
	s_add_u32 s14, s14, s17
	s_mul_hi_u32 s19, s13, s15
	s_addc_u32 s14, s18, s16
	s_addc_u32 s16, s19, 0
	s_mul_i32 s15, s13, s15
	s_add_u32 s14, s14, s15
	v_mov_b32_e32 v1, s14
	s_addc_u32 s15, 0, s16
	v_add_co_u32_e32 v1, vcc, s12, v1
	s_cmp_lg_u64 vcc, 0
	s_addc_u32 s12, s13, s15
	v_readfirstlane_b32 s15, v1
	s_mul_i32 s14, s8, s12
	s_mul_hi_u32 s16, s8, s15
	s_mul_hi_u32 s13, s8, s12
	s_add_u32 s14, s16, s14
	s_addc_u32 s13, 0, s13
	s_mul_hi_u32 s17, s9, s15
	s_mul_i32 s15, s9, s15
	s_add_u32 s14, s14, s15
	s_mul_hi_u32 s16, s9, s12
	s_addc_u32 s13, s13, s17
	s_addc_u32 s14, s16, 0
	s_mul_i32 s12, s9, s12
	s_add_u32 s12, s13, s12
	s_addc_u32 s13, 0, s14
	s_add_u32 s14, s12, 1
	s_addc_u32 s15, s13, 0
	s_add_u32 s16, s12, 2
	s_mul_i32 s18, s13, 21
	s_mul_hi_u32 s19, s12, 21
	s_addc_u32 s17, s13, 0
	s_add_i32 s19, s19, s18
	s_mul_i32 s18, s12, 21
	v_mov_b32_e32 v1, s18
	v_sub_co_u32_e32 v1, vcc, s8, v1
	s_cmp_lg_u64 vcc, 0
	s_subb_u32 s8, s9, s19
	v_subrev_co_u32_e32 v2, vcc, 21, v1
	s_cmp_lg_u64 vcc, 0
	s_subb_u32 s9, s8, 0
	v_readfirstlane_b32 s18, v2
	s_cmp_gt_u32 s18, 20
	s_cselect_b32 s18, -1, 0
	s_cmp_eq_u32 s9, 0
	s_cselect_b32 s9, s18, -1
	s_cmp_lg_u32 s9, 0
	s_cselect_b32 s9, s16, s14
	s_cselect_b32 s14, s17, s15
	v_readfirstlane_b32 s15, v1
	s_cmp_gt_u32 s15, 20
	s_cselect_b32 s15, -1, 0
	s_cmp_eq_u32 s8, 0
	s_cselect_b32 s8, s15, -1
	s_cmp_lg_u32 s8, 0
	s_cselect_b32 s9, s9, s12
	s_cselect_b32 s8, s14, s13
	s_add_u32 s18, s9, 1
	s_addc_u32 s19, s8, 0
	v_mov_b32_e32 v1, s18
	v_mov_b32_e32 v2, s19
	v_cmp_lt_u64_e32 vcc, s[6:7], v[1:2]
	s_cbranch_vccnz .LBB0_2
; %bb.1:
	v_cvt_f32_u32_e32 v1, s18
	s_sub_i32 s8, 0, s18
	s_mov_b32 s21, s7
	v_rcp_iflag_f32_e32 v1, v1
	v_mul_f32_e32 v1, 0x4f7ffffe, v1
	v_cvt_u32_f32_e32 v1, v1
	v_readfirstlane_b32 s9, v1
	s_mul_i32 s8, s8, s9
	s_mul_hi_u32 s8, s9, s8
	s_add_i32 s9, s9, s8
	s_mul_hi_u32 s8, s6, s9
	s_mul_i32 s12, s8, s18
	s_sub_i32 s12, s6, s12
	s_add_i32 s9, s8, 1
	s_sub_i32 s13, s12, s18
	s_cmp_ge_u32 s12, s18
	s_cselect_b32 s8, s9, s8
	s_cselect_b32 s12, s13, s12
	s_add_i32 s9, s8, 1
	s_cmp_ge_u32 s12, s18
	s_cselect_b32 s20, s9, s8
.LBB0_2:
	s_load_dwordx2 s[8:9], s[0:1], 0x10
	s_load_dwordx2 s[12:13], s[2:3], 0x8
	s_mov_b64 s[0:1], s[20:21]
	s_waitcnt lgkmcnt(0)
	v_mov_b32_e32 v1, s8
	v_mov_b32_e32 v2, s9
	v_cmp_lt_u64_e32 vcc, s[20:21], v[1:2]
	s_cbranch_vccnz .LBB0_4
; %bb.3:
	v_cvt_f32_u32_e32 v1, s8
	s_sub_i32 s0, 0, s8
	v_rcp_iflag_f32_e32 v1, v1
	v_mul_f32_e32 v1, 0x4f7ffffe, v1
	v_cvt_u32_f32_e32 v1, v1
	v_readfirstlane_b32 s1, v1
	s_mul_i32 s0, s0, s1
	s_mul_hi_u32 s0, s1, s0
	s_add_i32 s1, s1, s0
	s_mul_hi_u32 s0, s20, s1
	s_mul_i32 s0, s0, s8
	s_sub_i32 s0, s20, s0
	s_sub_i32 s1, s0, s8
	s_cmp_ge_u32 s0, s8
	s_cselect_b32 s0, s1, s0
	s_sub_i32 s1, s0, s8
	s_cmp_ge_u32 s0, s8
	s_cselect_b32 s0, s1, s0
.LBB0_4:
	s_mul_i32 s1, s8, s19
	s_mul_hi_u32 s16, s8, s18
	s_add_i32 s1, s16, s1
	s_mul_i32 s9, s9, s18
	s_mul_i32 s16, s8, s18
	s_load_dwordx2 s[14:15], s[4:5], 0x50
	s_add_i32 s17, s1, s9
	s_load_dwordx2 s[8:9], s[2:3], 0x0
	s_load_dwordx2 s[22:23], s[2:3], 0x10
	v_mov_b32_e32 v1, s16
	v_mov_b32_e32 v2, s17
	v_cmp_lt_u64_e32 vcc, s[6:7], v[1:2]
	s_mov_b64 s[24:25], 0
	s_cbranch_vccnz .LBB0_6
; %bb.5:
	v_cvt_f32_u32_e32 v1, s16
	s_sub_i32 s1, 0, s16
	v_rcp_iflag_f32_e32 v1, v1
	v_mul_f32_e32 v1, 0x4f7ffffe, v1
	v_cvt_u32_f32_e32 v1, v1
	v_readfirstlane_b32 s7, v1
	s_mul_i32 s1, s1, s7
	s_mul_hi_u32 s1, s7, s1
	s_add_i32 s7, s7, s1
	s_mul_hi_u32 s1, s6, s7
	s_mul_i32 s17, s1, s16
	s_sub_i32 s17, s6, s17
	s_add_i32 s7, s1, 1
	s_sub_i32 s21, s17, s16
	s_cmp_ge_u32 s17, s16
	s_cselect_b32 s1, s7, s1
	s_cselect_b32 s17, s21, s17
	s_add_i32 s7, s1, 1
	s_cmp_ge_u32 s17, s16
	s_cselect_b32 s24, s7, s1
.LBB0_6:
	s_mul_i32 s1, s20, s19
	s_mul_hi_u32 s7, s20, s18
	s_add_i32 s7, s7, s1
	s_mul_i32 s1, s20, s18
	s_sub_u32 s1, s6, s1
	s_subb_u32 s6, 0, s7
	s_mul_i32 s6, s6, 21
	s_mul_hi_u32 s7, s1, 21
	s_add_i32 s18, s7, s6
	s_mul_i32 s1, s1, 21
	s_load_dwordx2 s[2:3], s[2:3], 0x18
	s_mul_i32 s6, s12, s18
	s_mul_hi_u32 s7, s12, s1
	s_add_i32 s6, s7, s6
	s_mul_i32 s7, s13, s1
	s_waitcnt lgkmcnt(0)
	s_mul_i32 s19, s23, s0
	s_mul_hi_u32 s20, s22, s0
	s_add_i32 s6, s6, s7
	s_mul_i32 s7, s12, s1
	s_add_i32 s20, s20, s19
	s_mul_i32 s0, s22, s0
	s_add_u32 s0, s0, s7
	v_mul_u32_u24_e32 v1, 0xc31, v0
	s_addc_u32 s7, s20, s6
	s_mul_i32 s3, s3, s24
	s_mul_hi_u32 s6, s2, s24
	v_lshrrev_b32_e32 v62, 16, v1
	s_add_i32 s3, s6, s3
	s_mul_i32 s2, s2, s24
	v_mul_lo_u16_e32 v1, 21, v62
	s_add_u32 s6, s2, s0
	v_sub_u16_e32 v63, v0, v1
	s_addc_u32 s7, s3, s7
	v_mov_b32_e32 v1, s18
	v_add_co_u32_e32 v24, vcc, s1, v63
	s_load_dwordx2 s[16:17], s[4:5], 0x0
	v_addc_co_u32_e32 v25, vcc, 0, v1, vcc
	s_add_u32 s0, s1, 21
	v_mov_b32_e32 v1, s10
	s_addc_u32 s1, s18, 0
	v_mov_b32_e32 v2, s11
	v_cmp_gt_u64_e32 vcc, s[0:1], v[1:2]
	v_cmp_le_u64_e64 s[0:1], s[0:1], v[1:2]
	s_and_b64 vcc, exec, vcc
	v_or_b32_e32 v37, 48, v62
	v_add_u32_e32 v39, 12, v62
	v_add_u32_e32 v38, 60, v62
	;; [unrolled: 1-line block ×4, first 2 shown]
	s_cbranch_vccnz .LBB0_8
; %bb.7:
	v_mad_u64_u32 v[1:2], s[2:3], s12, v63, 0
	v_mad_u64_u32 v[3:4], s[2:3], s8, v62, 0
	v_or_b32_e32 v65, 48, v62
	v_add_u32_e32 v66, 12, v62
	v_mad_u64_u32 v[5:6], s[2:3], s13, v63, v[2:3]
	v_mov_b32_e32 v2, v4
	v_mad_u64_u32 v[6:7], s[2:3], s9, v62, v[2:3]
	s_lshl_b64 s[2:3], s[6:7], 3
	s_add_u32 s18, s14, s2
	s_addc_u32 s2, s15, s3
	v_mov_b32_e32 v2, v5
	v_mov_b32_e32 v4, v6
	;; [unrolled: 1-line block ×3, first 2 shown]
	v_mad_u64_u32 v[5:6], s[2:3], s8, v65, 0
	v_lshlrev_b64 v[1:2], 3, v[1:2]
	v_add_u32_e32 v64, 60, v62
	v_add_co_u32_e32 v9, vcc, s18, v1
	v_addc_co_u32_e32 v10, vcc, v7, v2, vcc
	v_lshlrev_b64 v[1:2], 3, v[3:4]
	v_mov_b32_e32 v3, v6
	v_mad_u64_u32 v[3:4], s[2:3], s9, v65, v[3:4]
	v_or_b32_e32 v4, 0x60, v62
	v_mad_u64_u32 v[7:8], s[2:3], s8, v4, 0
	v_add_co_u32_e32 v34, vcc, v9, v1
	v_mov_b32_e32 v6, v3
	v_mov_b32_e32 v3, v8
	v_addc_co_u32_e32 v35, vcc, v10, v2, vcc
	v_lshlrev_b64 v[1:2], 3, v[5:6]
	v_mad_u64_u32 v[3:4], s[2:3], s9, v4, v[3:4]
	v_or_b32_e32 v6, 0x90, v62
	v_mad_u64_u32 v[4:5], s[2:3], s8, v6, 0
	v_mov_b32_e32 v8, v3
	v_add_co_u32_e32 v42, vcc, v9, v1
	v_mov_b32_e32 v3, v5
	v_mad_u64_u32 v[5:6], s[2:3], s9, v6, v[3:4]
	v_addc_co_u32_e32 v43, vcc, v10, v2, vcc
	v_lshlrev_b64 v[1:2], 3, v[7:8]
	v_mad_u64_u32 v[6:7], s[2:3], s8, v66, 0
	v_add_co_u32_e32 v44, vcc, v9, v1
	v_mov_b32_e32 v3, v7
	v_addc_co_u32_e32 v45, vcc, v10, v2, vcc
	v_lshlrev_b64 v[1:2], 3, v[4:5]
	v_mad_u64_u32 v[3:4], s[2:3], s9, v66, v[3:4]
	v_mad_u64_u32 v[4:5], s[2:3], s8, v64, 0
	v_add_co_u32_e32 v46, vcc, v9, v1
	v_mov_b32_e32 v7, v3
	v_mov_b32_e32 v3, v5
	v_addc_co_u32_e32 v47, vcc, v10, v2, vcc
	v_lshlrev_b64 v[1:2], 3, v[6:7]
	v_mad_u64_u32 v[5:6], s[2:3], s9, v64, v[3:4]
	v_add_u32_e32 v8, 0x6c, v62
	v_mad_u64_u32 v[6:7], s[2:3], s8, v8, 0
	v_add_co_u32_e32 v48, vcc, v9, v1
	v_mov_b32_e32 v3, v7
	v_addc_co_u32_e32 v49, vcc, v10, v2, vcc
	v_lshlrev_b64 v[1:2], 3, v[4:5]
	v_mad_u64_u32 v[3:4], s[2:3], s9, v8, v[3:4]
	v_add_u32_e32 v8, 0x9c, v62
	v_mad_u64_u32 v[4:5], s[2:3], s8, v8, 0
	v_add_co_u32_e32 v50, vcc, v9, v1
	v_mov_b32_e32 v7, v3
	v_mov_b32_e32 v3, v5
	v_addc_co_u32_e32 v51, vcc, v10, v2, vcc
	v_lshlrev_b64 v[1:2], 3, v[6:7]
	v_mad_u64_u32 v[5:6], s[2:3], s9, v8, v[3:4]
	v_add_u32_e32 v67, 24, v62
	v_mad_u64_u32 v[6:7], s[2:3], s8, v67, 0
	v_add_co_u32_e32 v52, vcc, v9, v1
	v_mov_b32_e32 v3, v7
	v_addc_co_u32_e32 v53, vcc, v10, v2, vcc
	v_lshlrev_b64 v[1:2], 3, v[4:5]
	v_mad_u64_u32 v[3:4], s[2:3], s9, v67, v[3:4]
	v_add_u32_e32 v23, 0x48, v62
	;; [unrolled: 15-line block ×5, first 2 shown]
	v_mad_u64_u32 v[4:5], s[2:3], s8, v8, 0
	v_add_co_u32_e32 v73, vcc, v9, v1
	v_mov_b32_e32 v7, v3
	v_mov_b32_e32 v3, v5
	v_addc_co_u32_e32 v74, vcc, v10, v2, vcc
	v_lshlrev_b64 v[1:2], 3, v[6:7]
	v_mad_u64_u32 v[5:6], s[2:3], s9, v8, v[3:4]
	v_add_co_u32_e32 v75, vcc, v9, v1
	v_addc_co_u32_e32 v76, vcc, v10, v2, vcc
	v_lshlrev_b64 v[1:2], 3, v[4:5]
	v_add_co_u32_e32 v77, vcc, v9, v1
	v_addc_co_u32_e32 v78, vcc, v10, v2, vcc
	global_load_dwordx2 v[5:6], v[34:35], off
	global_load_dwordx2 v[3:4], v[42:43], off
	;; [unrolled: 1-line block ×15, first 2 shown]
                                        ; kill: killed $vgpr42 killed $vgpr43
                                        ; kill: killed $vgpr58 killed $vgpr59
                                        ; kill: killed $vgpr52 killed $vgpr53
                                        ; kill: killed $vgpr75 killed $vgpr76
                                        ; kill: killed $vgpr46 killed $vgpr47
                                        ; kill: killed $vgpr69 killed $vgpr70
                                        ; kill: killed $vgpr48 killed $vgpr49
                                        ; kill: killed $vgpr71 killed $vgpr72
                                        ; kill: killed $vgpr50 killed $vgpr51
                                        ; kill: killed $vgpr73 killed $vgpr74
                                        ; kill: killed $vgpr44 killed $vgpr45
                                        ; kill: killed $vgpr60 killed $vgpr61
                                        ; kill: killed $vgpr54 killed $vgpr55
                                        ; kill: killed $vgpr34 killed $vgpr35
                                        ; kill: killed $vgpr56 killed $vgpr57
	global_load_dwordx2 v[34:35], v[77:78], off
	s_cbranch_execz .LBB0_9
	s_branch .LBB0_14
.LBB0_8:
                                        ; implicit-def: $vgpr1
                                        ; implicit-def: $vgpr9
                                        ; implicit-def: $vgpr17
                                        ; implicit-def: $vgpr34
                                        ; implicit-def: $vgpr32
                                        ; implicit-def: $vgpr28
                                        ; implicit-def: $vgpr30
                                        ; implicit-def: $vgpr66
                                        ; implicit-def: $vgpr67
                                        ; implicit-def: $vgpr68
                                        ; implicit-def: $vgpr65
                                        ; implicit-def: $vgpr64
                                        ; implicit-def: $vgpr23
                                        ; implicit-def: $vgpr36
                                        ; implicit-def: $vgpr26
                                        ; implicit-def: $vgpr19
                                        ; implicit-def: $vgpr21
                                        ; implicit-def: $vgpr15
                                        ; implicit-def: $vgpr11
                                        ; implicit-def: $vgpr13
                                        ; implicit-def: $vgpr7
                                        ; implicit-def: $vgpr3
                                        ; implicit-def: $vgpr5
.LBB0_9:
	v_cmp_le_u64_e32 vcc, s[10:11], v[24:25]
                                        ; implicit-def: $vgpr66
                                        ; implicit-def: $vgpr67
                                        ; implicit-def: $vgpr68
                                        ; implicit-def: $vgpr65
                                        ; implicit-def: $vgpr64
                                        ; implicit-def: $vgpr23
                                        ; implicit-def: $vgpr36
	s_and_saveexec_b64 s[2:3], vcc
	s_xor_b64 s[2:3], exec, s[2:3]
; %bb.10:
	v_add_u32_e32 v66, 12, v62
	v_add_u32_e32 v67, 24, v62
	v_add_u32_e32 v68, 36, v62
	v_or_b32_e32 v65, 48, v62
	v_add_u32_e32 v64, 60, v62
	v_add_u32_e32 v23, 0x48, v62
	;; [unrolled: 1-line block ×3, first 2 shown]
                                        ; implicit-def: $vgpr37
                                        ; implicit-def: $vgpr39
                                        ; implicit-def: $vgpr38
                                        ; implicit-def: $vgpr40
                                        ; implicit-def: $vgpr41
; %bb.11:
	s_or_saveexec_b64 s[2:3], s[2:3]
                                        ; implicit-def: $vgpr1
                                        ; implicit-def: $vgpr9
                                        ; implicit-def: $vgpr17
                                        ; implicit-def: $vgpr34
                                        ; implicit-def: $vgpr32
                                        ; implicit-def: $vgpr28
                                        ; implicit-def: $vgpr30
                                        ; implicit-def: $vgpr26
                                        ; implicit-def: $vgpr19
                                        ; implicit-def: $vgpr21
                                        ; implicit-def: $vgpr15
                                        ; implicit-def: $vgpr11
                                        ; implicit-def: $vgpr13
                                        ; implicit-def: $vgpr7
                                        ; implicit-def: $vgpr3
                                        ; implicit-def: $vgpr5
	s_xor_b64 exec, exec, s[2:3]
	s_cbranch_execz .LBB0_13
; %bb.12:
	s_waitcnt vmcnt(12)
	v_mad_u64_u32 v[1:2], s[18:19], s12, v63, 0
	v_mad_u64_u32 v[3:4], s[18:19], s8, v62, 0
	v_add_u32_e32 v23, 0x48, v62
	v_mov_b32_e32 v66, v39
	v_mad_u64_u32 v[5:6], s[18:19], s13, v63, v[2:3]
	v_mov_b32_e32 v2, v4
	v_mad_u64_u32 v[6:7], s[18:19], s9, v62, v[2:3]
	s_lshl_b64 s[18:19], s[6:7], 3
	s_add_u32 s20, s14, s18
	s_addc_u32 s18, s15, s19
	v_mov_b32_e32 v2, v5
	v_mov_b32_e32 v4, v6
	;; [unrolled: 1-line block ×3, first 2 shown]
	v_mad_u64_u32 v[5:6], s[18:19], s8, v37, 0
	v_lshlrev_b64 v[1:2], 3, v[1:2]
	s_waitcnt vmcnt(9)
	v_mad_u64_u32 v[15:16], s[18:19], s8, v39, 0
	v_add_co_u32_e32 v48, vcc, s20, v1
	v_addc_co_u32_e32 v49, vcc, v7, v2, vcc
	v_lshlrev_b64 v[1:2], 3, v[3:4]
	v_mov_b32_e32 v3, v6
	v_mad_u64_u32 v[3:4], s[18:19], s9, v37, v[3:4]
	v_or_b32_e32 v4, 0x60, v62
	v_mad_u64_u32 v[7:8], s[18:19], s8, v4, 0
	s_waitcnt vmcnt(8)
	v_add_co_u32_e32 v9, vcc, v48, v1
	v_mov_b32_e32 v6, v3
	v_mov_b32_e32 v3, v8
	v_addc_co_u32_e32 v10, vcc, v49, v2, vcc
	v_lshlrev_b64 v[1:2], 3, v[5:6]
	v_mad_u64_u32 v[3:4], s[18:19], s9, v4, v[3:4]
	v_or_b32_e32 v6, 0x90, v62
	v_mad_u64_u32 v[4:5], s[18:19], s8, v6, 0
	v_mov_b32_e32 v8, v3
	v_add_co_u32_e32 v11, vcc, v48, v1
	v_mov_b32_e32 v3, v5
	v_mad_u64_u32 v[5:6], s[18:19], s9, v6, v[3:4]
	v_addc_co_u32_e32 v12, vcc, v49, v2, vcc
	v_lshlrev_b64 v[1:2], 3, v[7:8]
	s_waitcnt vmcnt(5)
	v_mad_u64_u32 v[26:27], s[18:19], s8, v40, 0
	v_add_co_u32_e32 v13, vcc, v48, v1
	v_addc_co_u32_e32 v14, vcc, v49, v2, vcc
	v_lshlrev_b64 v[1:2], 3, v[4:5]
	s_waitcnt vmcnt(0)
	v_mad_u64_u32 v[34:35], s[18:19], s8, v41, 0
	v_add_co_u32_e32 v17, vcc, v48, v1
	v_mov_b32_e32 v1, v16
	v_mad_u64_u32 v[19:20], s[18:19], s9, v39, v[1:2]
	v_mad_u64_u32 v[20:21], s[18:19], s8, v38, 0
	v_addc_co_u32_e32 v18, vcc, v49, v2, vcc
	global_load_dwordx2 v[5:6], v[9:10], off
	global_load_dwordx2 v[3:4], v[11:12], off
	;; [unrolled: 1-line block ×4, first 2 shown]
	v_mov_b32_e32 v11, v21
	v_mad_u64_u32 v[11:12], s[18:19], s9, v38, v[11:12]
	v_add_u32_e32 v14, 0x6c, v62
	v_mad_u64_u32 v[12:13], s[18:19], s8, v14, 0
	v_mov_b32_e32 v16, v19
	v_mov_b32_e32 v21, v11
	;; [unrolled: 1-line block ×3, first 2 shown]
	v_lshlrev_b64 v[9:10], 3, v[15:16]
	v_mad_u64_u32 v[13:14], s[18:19], s9, v14, v[11:12]
	v_add_u32_e32 v16, 0x9c, v62
	v_mad_u64_u32 v[14:15], s[18:19], s8, v16, 0
	v_add_co_u32_e32 v17, vcc, v48, v9
	v_addc_co_u32_e32 v18, vcc, v49, v10, vcc
	v_lshlrev_b64 v[9:10], 3, v[20:21]
	v_mov_b32_e32 v11, v15
	v_add_co_u32_e32 v19, vcc, v48, v9
	v_addc_co_u32_e32 v20, vcc, v49, v10, vcc
	v_lshlrev_b64 v[9:10], 3, v[12:13]
	v_mad_u64_u32 v[11:12], s[18:19], s9, v16, v[11:12]
	v_add_co_u32_e32 v21, vcc, v48, v9
	v_mov_b32_e32 v15, v11
	v_addc_co_u32_e32 v22, vcc, v49, v10, vcc
	v_lshlrev_b64 v[9:10], 3, v[14:15]
	v_mov_b32_e32 v67, v40
	v_add_co_u32_e32 v28, vcc, v48, v9
	v_mov_b32_e32 v9, v27
	v_mad_u64_u32 v[30:31], s[18:19], s9, v40, v[9:10]
	v_mad_u64_u32 v[31:32], s[18:19], s8, v23, 0
	v_addc_co_u32_e32 v29, vcc, v49, v10, vcc
	global_load_dwordx2 v[13:14], v[17:18], off
	global_load_dwordx2 v[11:12], v[19:20], off
	;; [unrolled: 1-line block ×4, first 2 shown]
	v_mov_b32_e32 v19, v32
	v_mad_u64_u32 v[19:20], s[18:19], s9, v23, v[19:20]
	v_add_u32_e32 v22, 0x78, v62
	v_mad_u64_u32 v[20:21], s[18:19], s8, v22, 0
	v_mov_b32_e32 v32, v19
	v_mov_b32_e32 v27, v30
	;; [unrolled: 1-line block ×3, first 2 shown]
	v_mad_u64_u32 v[21:22], s[18:19], s9, v22, v[19:20]
	v_lshlrev_b64 v[17:18], 3, v[26:27]
	v_add_u32_e32 v22, 0xa8, v62
	v_mad_u64_u32 v[26:27], s[18:19], s8, v22, 0
	v_add_co_u32_e32 v28, vcc, v48, v17
	v_addc_co_u32_e32 v29, vcc, v49, v18, vcc
	v_lshlrev_b64 v[17:18], 3, v[31:32]
	v_mov_b32_e32 v19, v27
	v_add_co_u32_e32 v30, vcc, v48, v17
	v_addc_co_u32_e32 v31, vcc, v49, v18, vcc
	v_lshlrev_b64 v[17:18], 3, v[20:21]
	v_mad_u64_u32 v[19:20], s[18:19], s9, v22, v[19:20]
	v_add_co_u32_e32 v32, vcc, v48, v17
	v_mov_b32_e32 v27, v19
	v_addc_co_u32_e32 v33, vcc, v49, v18, vcc
	v_lshlrev_b64 v[17:18], 3, v[26:27]
	v_mov_b32_e32 v68, v41
	v_add_co_u32_e32 v42, vcc, v48, v17
	v_mov_b32_e32 v17, v35
	v_mad_u64_u32 v[35:36], s[18:19], s9, v41, v[17:18]
	v_add_u32_e32 v36, 0x54, v62
	v_mad_u64_u32 v[44:45], s[18:19], s8, v36, 0
	v_addc_co_u32_e32 v43, vcc, v49, v18, vcc
	global_load_dwordx2 v[21:22], v[28:29], off
	global_load_dwordx2 v[19:20], v[30:31], off
	;; [unrolled: 1-line block ×4, first 2 shown]
	v_mov_b32_e32 v30, v45
	v_mad_u64_u32 v[30:31], s[18:19], s9, v36, v[30:31]
	v_add_u32_e32 v33, 0x84, v62
	v_mad_u64_u32 v[31:32], s[18:19], s8, v33, 0
	v_mov_b32_e32 v45, v30
	v_lshlrev_b64 v[28:29], 3, v[34:35]
	v_mov_b32_e32 v30, v32
	v_mad_u64_u32 v[32:33], s[18:19], s9, v33, v[30:31]
	v_add_u32_e32 v35, 0xb4, v62
	v_mad_u64_u32 v[33:34], s[18:19], s8, v35, 0
	v_add_co_u32_e32 v42, vcc, v48, v28
	v_addc_co_u32_e32 v43, vcc, v49, v29, vcc
	v_lshlrev_b64 v[28:29], 3, v[44:45]
	v_mov_b32_e32 v30, v34
	v_add_co_u32_e32 v44, vcc, v48, v28
	v_addc_co_u32_e32 v45, vcc, v49, v29, vcc
	v_lshlrev_b64 v[28:29], 3, v[31:32]
	v_mad_u64_u32 v[30:31], s[18:19], s9, v35, v[30:31]
	v_add_co_u32_e32 v46, vcc, v48, v28
	v_mov_b32_e32 v34, v30
	v_addc_co_u32_e32 v47, vcc, v49, v29, vcc
	v_lshlrev_b64 v[28:29], 3, v[33:34]
	v_mov_b32_e32 v65, v37
	v_add_co_u32_e32 v48, vcc, v48, v28
	v_addc_co_u32_e32 v49, vcc, v49, v29, vcc
	global_load_dwordx2 v[30:31], v[42:43], off
	global_load_dwordx2 v[28:29], v[44:45], off
	;; [unrolled: 1-line block ×4, first 2 shown]
	v_mov_b32_e32 v64, v38
.LBB0_13:
	s_or_b64 exec, exec, s[2:3]
.LBB0_14:
	s_waitcnt vmcnt(13)
	v_sub_f32_e32 v37, v5, v7
	v_sub_f32_e32 v8, v6, v8
	s_waitcnt vmcnt(12)
	v_sub_f32_e32 v1, v3, v1
	v_sub_f32_e32 v7, v4, v2
	v_fma_f32 v5, v5, 2.0, -v37
	v_fma_f32 v6, v6, 2.0, -v8
	;; [unrolled: 1-line block ×4, first 2 shown]
	v_sub_f32_e32 v2, v5, v2
	v_sub_f32_e32 v3, v6, v3
	v_fma_f32 v4, v5, 2.0, -v2
	v_fma_f32 v5, v6, 2.0, -v3
	v_sub_f32_e32 v6, v37, v7
	v_add_f32_e32 v7, v8, v1
	s_waitcnt vmcnt(9)
	v_sub_f32_e32 v1, v13, v15
	v_sub_f32_e32 v15, v14, v16
	s_waitcnt vmcnt(8)
	v_sub_f32_e32 v39, v12, v10
	v_fma_f32 v14, v14, 2.0, -v15
	v_sub_f32_e32 v16, v11, v9
	v_fma_f32 v9, v12, 2.0, -v39
	v_fma_f32 v38, v8, 2.0, -v7
	;; [unrolled: 1-line block ×4, first 2 shown]
	v_sub_f32_e32 v9, v14, v9
	v_sub_f32_e32 v12, v1, v39
	;; [unrolled: 1-line block ×3, first 2 shown]
	v_fma_f32 v11, v14, 2.0, -v9
	v_fma_f32 v14, v1, 2.0, -v12
	s_waitcnt vmcnt(5)
	v_sub_f32_e32 v1, v21, v26
	v_sub_f32_e32 v27, v22, v27
	s_waitcnt vmcnt(4)
	v_sub_f32_e32 v26, v19, v17
	v_sub_f32_e32 v39, v20, v18
	v_fma_f32 v10, v13, 2.0, -v8
	v_add_f32_e32 v13, v15, v16
	v_fma_f32 v21, v21, 2.0, -v1
	v_fma_f32 v22, v22, 2.0, -v27
	;; [unrolled: 1-line block ×4, first 2 shown]
	v_sub_f32_e32 v16, v21, v16
	v_sub_f32_e32 v17, v22, v17
	;; [unrolled: 1-line block ×3, first 2 shown]
	v_fma_f32 v18, v21, 2.0, -v16
	v_fma_f32 v19, v22, 2.0, -v17
	v_add_f32_e32 v21, v27, v26
	v_fma_f32 v26, v1, 2.0, -v20
	s_waitcnt vmcnt(1)
	v_sub_f32_e32 v1, v30, v32
	v_sub_f32_e32 v22, v31, v33
	s_waitcnt vmcnt(0)
	v_sub_f32_e32 v33, v28, v34
	v_sub_f32_e32 v32, v29, v35
	v_fma_f32 v28, v28, 2.0, -v33
	v_fma_f32 v29, v29, 2.0, -v32
	v_sub_f32_e32 v32, v1, v32
	v_add_f32_e32 v33, v22, v33
	v_fma_f32 v30, v30, 2.0, -v1
	v_fma_f32 v31, v31, 2.0, -v22
	;; [unrolled: 1-line block ×4, first 2 shown]
	v_mul_u32_u24_e32 v22, 0x2a0, v62
	v_lshlrev_b32_e32 v1, 3, v63
	v_fma_f32 v37, v37, 2.0, -v6
	v_add3_u32 v22, 0, v22, v1
	ds_write2_b64 v22, v[4:5], v[37:38] offset1:21
	ds_write2_b64 v22, v[2:3], v[6:7] offset0:42 offset1:63
	v_mul_i32_i24_e32 v2, 0x2a0, v66
	v_fma_f32 v15, v15, 2.0, -v13
	v_add3_u32 v2, 0, v2, v1
	ds_write2_b64 v2, v[10:11], v[14:15] offset1:21
	ds_write2_b64 v2, v[8:9], v[12:13] offset0:42 offset1:63
	v_mul_i32_i24_e32 v2, 0x2a0, v67
	v_fma_f32 v27, v27, 2.0, -v21
	v_add3_u32 v2, 0, v2, v1
	v_sub_f32_e32 v28, v30, v28
	v_sub_f32_e32 v29, v31, v29
	ds_write2_b64 v2, v[18:19], v[26:27] offset1:21
	ds_write2_b64 v2, v[16:17], v[20:21] offset0:42 offset1:63
	v_mul_i32_i24_e32 v2, 0x2a0, v68
	v_fma_f32 v30, v30, 2.0, -v28
	v_fma_f32 v31, v31, 2.0, -v29
	v_add3_u32 v2, 0, v2, v1
	ds_write2_b64 v2, v[30:31], v[34:35] offset1:21
	ds_write2_b64 v2, v[28:29], v[32:33] offset0:42 offset1:63
	v_and_b32_e32 v2, 3, v62
	v_mul_u32_u24_e32 v2, 3, v2
	v_lshlrev_b32_e32 v2, 3, v2
	s_waitcnt lgkmcnt(0)
	s_barrier
	global_load_dwordx4 v[9:12], v2, s[16:17]
	global_load_dwordx2 v[21:22], v2, s[16:17] offset:16
	v_mul_u32_u24_e32 v2, 0xa8, v62
	v_add3_u32 v2, 0, v2, v1
	v_add_u32_e32 v7, 0x3f00, v2
	v_mul_i32_i24_e32 v4, 0xa8, v66
	ds_read2_b64 v[13:16], v7 offset1:252
	v_add3_u32 v28, 0, v4, v1
	v_add_u32_e32 v4, 0x2400, v2
	ds_read2_b32 v[26:27], v4 offset0:216 offset1:217
	v_mul_i32_i24_e32 v4, 0xa8, v67
	v_add3_u32 v29, 0, v4, v1
	v_add_u32_e32 v4, 0x2f40, v2
	ds_read2_b64 v[30:33], v4 offset1:252
	v_add_u32_e32 v8, 0x4ec0, v2
	ds_read2_b64 v[37:40], v8 offset1:252
	v_mul_i32_i24_e32 v3, 0xa8, v65
	v_add_u32_e32 v5, 0x5e80, v2
	v_add3_u32 v3, 0, v3, v1
	ds_read2_b64 v[17:20], v5 offset1:252
	v_add_u32_e32 v6, 0x6e40, v2
	s_movk_i32 s2, 0x3fe0
	v_lshlrev_b32_e32 v71, 1, v67
	v_lshlrev_b32_e32 v70, 1, v68
	v_lshlrev_b32_e32 v69, 1, v65
	s_waitcnt vmcnt(1) lgkmcnt(4)
	v_mul_f32_e32 v4, v12, v14
	v_fma_f32 v34, v11, v13, -v4
	v_mul_f32_e32 v35, v12, v13
	v_mul_f32_e32 v4, v16, v12
	v_mul_f32_e32 v42, v15, v12
	v_fmac_f32_e32 v35, v11, v14
	v_fma_f32 v41, v15, v11, -v4
	v_fmac_f32_e32 v42, v16, v11
	ds_read_b64 v[13:14], v2
	ds_read_b64 v[15:16], v3
	s_waitcnt lgkmcnt(4)
	v_mul_f32_e32 v4, v31, v10
	v_fma_f32 v43, v30, v9, -v4
	v_mul_f32_e32 v4, v33, v10
	v_fma_f32 v45, v32, v9, -v4
	s_waitcnt lgkmcnt(3)
	v_mul_f32_e32 v4, v38, v12
	v_fma_f32 v47, v37, v11, -v4
	v_mul_f32_e32 v4, v40, v12
	v_mul_f32_e32 v37, v37, v12
	v_fma_f32 v48, v39, v11, -v4
	s_waitcnt lgkmcnt(0)
	v_mul_f32_e32 v4, v10, v16
	v_fmac_f32_e32 v37, v38, v11
	v_fma_f32 v38, v9, v15, -v4
	v_mul_f32_e32 v4, v27, v10
	v_mul_f32_e32 v44, v30, v10
	;; [unrolled: 1-line block ×5, first 2 shown]
	v_fma_f32 v39, v9, v26, -v4
	v_mul_f32_e32 v26, v10, v26
	v_fmac_f32_e32 v44, v31, v9
	v_fmac_f32_e32 v46, v33, v9
	;; [unrolled: 1-line block ×3, first 2 shown]
	ds_read_b64 v[30:31], v28
	ds_read_b64 v[32:33], v29
	v_fmac_f32_e32 v15, v9, v16
	v_fmac_f32_e32 v26, v27, v9
	ds_read2_b64 v[9:12], v6 offset1:252
	s_waitcnt vmcnt(0)
	v_mul_f32_e32 v4, v22, v18
	v_fma_f32 v16, v21, v17, -v4
	v_mul_f32_e32 v4, v20, v22
	v_fma_f32 v27, v19, v21, -v4
	s_waitcnt lgkmcnt(0)
	v_mul_f32_e32 v4, v10, v22
	v_fma_f32 v40, v9, v21, -v4
	v_mul_f32_e32 v4, v12, v22
	v_fma_f32 v51, v11, v21, -v4
	v_mul_i32_i24_e32 v4, 0xa8, v68
	v_mul_f32_e32 v50, v9, v22
	v_add3_u32 v4, 0, v4, v1
	v_mul_f32_e32 v17, v22, v17
	v_fmac_f32_e32 v50, v10, v21
	ds_read_b64 v[9:10], v4
	v_fmac_f32_e32 v17, v21, v18
	v_mul_f32_e32 v19, v19, v22
	v_fmac_f32_e32 v19, v20, v21
	v_mul_f32_e32 v52, v11, v22
	v_sub_f32_e32 v18, v13, v34
	v_sub_f32_e32 v20, v14, v35
	;; [unrolled: 1-line block ×5, first 2 shown]
	v_fmac_f32_e32 v52, v12, v21
	v_fma_f32 v11, v38, 2.0, -v16
	v_fma_f32 v12, v15, 2.0, -v17
	v_sub_f32_e32 v15, v18, v17
	v_add_f32_e32 v16, v20, v16
	v_fma_f32 v21, v30, 2.0, -v34
	v_sub_f32_e32 v27, v39, v27
	v_sub_f32_e32 v30, v26, v19
	v_fma_f32 v13, v13, 2.0, -v18
	v_fma_f32 v14, v14, 2.0, -v20
	;; [unrolled: 1-line block ×4, first 2 shown]
	v_sub_f32_e32 v35, v31, v42
	v_fma_f32 v19, v39, 2.0, -v27
	v_fma_f32 v20, v26, 2.0, -v30
	v_sub_f32_e32 v26, v34, v30
	v_sub_f32_e32 v39, v32, v47
	;; [unrolled: 1-line block ×3, first 2 shown]
	v_add_f32_e32 v27, v35, v27
	v_fma_f32 v30, v34, 2.0, -v26
	v_sub_f32_e32 v41, v33, v37
	v_fma_f32 v34, v32, 2.0, -v39
	v_sub_f32_e32 v37, v44, v50
	v_fma_f32 v32, v43, 2.0, -v38
	s_waitcnt lgkmcnt(0)
	v_sub_f32_e32 v47, v9, v48
	v_sub_f32_e32 v48, v10, v49
	;; [unrolled: 1-line block ×3, first 2 shown]
	v_fma_f32 v22, v31, 2.0, -v35
	v_fma_f32 v31, v35, 2.0, -v27
	;; [unrolled: 1-line block ×4, first 2 shown]
	v_add_f32_e32 v38, v41, v38
	v_fma_f32 v42, v10, 2.0, -v48
	v_sub_f32_e32 v44, v45, v51
	v_fma_f32 v10, v46, 2.0, -v43
	v_sub_f32_e32 v43, v47, v43
	v_fma_f32 v40, v41, 2.0, -v38
	v_fma_f32 v41, v9, 2.0, -v47
	;; [unrolled: 1-line block ×4, first 2 shown]
	v_lshl_or_b32 v47, v62, 2, v62
	v_and_b32_e32 v47, 51, v47
	v_sub_f32_e32 v11, v13, v11
	v_sub_f32_e32 v12, v14, v12
	v_mul_u32_u24_e32 v47, 0xa8, v47
	v_fma_f32 v13, v13, 2.0, -v11
	v_fma_f32 v14, v14, 2.0, -v12
	v_add3_u32 v47, 0, v47, v1
	s_barrier
	ds_write2_b64 v47, v[13:14], v[17:18] offset1:84
	ds_write2_b64 v47, v[11:12], v[15:16] offset0:168 offset1:252
	v_lshl_or_b32 v11, v66, 2, v62
	v_and_b32_e32 v11, 0x7ff3, v11
	v_sub_f32_e32 v19, v21, v19
	v_sub_f32_e32 v20, v22, v20
	v_mul_u32_u24_e32 v11, 0xa8, v11
	v_fma_f32 v21, v21, 2.0, -v19
	v_fma_f32 v22, v22, 2.0, -v20
	v_add3_u32 v11, 0, v11, v1
	ds_write2_b64 v11, v[21:22], v[30:31] offset1:84
	ds_write2_b64 v11, v[19:20], v[26:27] offset0:168 offset1:252
	v_lshl_or_b32 v11, v67, 2, v62
	v_and_b32_e32 v11, 0x7ff3, v11
	v_sub_f32_e32 v32, v34, v32
	v_sub_f32_e32 v33, v35, v33
	;; [unrolled: 1-line block ×3, first 2 shown]
	v_mul_u32_u24_e32 v11, 0xa8, v11
	v_fma_f32 v34, v34, 2.0, -v32
	v_fma_f32 v35, v35, 2.0, -v33
	;; [unrolled: 1-line block ×3, first 2 shown]
	v_add3_u32 v11, 0, v11, v1
	ds_write2_b64 v11, v[34:35], v[39:40] offset1:84
	ds_write2_b64 v11, v[32:33], v[37:38] offset0:168 offset1:252
	v_lshl_or_b32 v11, v68, 2, v62
	v_and_b32_e32 v11, 0x7ff3, v11
	v_sub_f32_e32 v9, v41, v9
	v_sub_f32_e32 v10, v42, v10
	v_add_f32_e32 v44, v48, v44
	v_mul_u32_u24_e32 v11, 0xa8, v11
	v_fma_f32 v41, v41, 2.0, -v9
	v_fma_f32 v42, v42, 2.0, -v10
	;; [unrolled: 1-line block ×3, first 2 shown]
	v_add3_u32 v11, 0, v11, v1
	ds_write2_b64 v11, v[41:42], v[45:46] offset1:84
	ds_write2_b64 v11, v[9:10], v[43:44] offset0:168 offset1:252
	v_and_b32_e32 v43, 15, v67
	v_lshlrev_b32_e32 v9, 3, v43
	v_and_b32_e32 v44, 15, v68
	v_lshlrev_b32_e32 v45, 3, v62
	s_waitcnt lgkmcnt(0)
	s_barrier
	global_load_dwordx2 v[17:18], v9, s[16:17] offset:96
	global_load_dwordx2 v[26:27], v45, s[16:17] offset:96
	v_lshlrev_b32_e32 v9, 3, v44
	global_load_dwordx2 v[19:20], v9, s[16:17] offset:96
	v_and_b32_e32 v37, 15, v66
	v_lshlrev_b32_e32 v9, 3, v37
	global_load_dwordx2 v[21:22], v9, s[16:17] offset:96
	v_and_b32_e32 v46, 15, v64
	;; [unrolled: 3-line block ×3, first 2 shown]
	v_lshlrev_b32_e32 v9, 3, v47
	v_and_b32_e32 v48, 15, v36
	global_load_dwordx2 v[32:33], v9, s[16:17] offset:96
	v_lshlrev_b32_e32 v9, 3, v48
	global_load_dwordx2 v[34:35], v9, s[16:17] offset:96
	ds_read2_b64 v[9:12], v8 offset1:252
	ds_read2_b64 v[13:16], v7 offset1:252
	v_lshlrev_b32_e32 v40, 1, v66
	s_waitcnt vmcnt(6) lgkmcnt(1)
	v_mul_f32_e32 v38, v18, v10
	v_fma_f32 v38, v17, v9, -v38
	v_mul_f32_e32 v41, v18, v9
	s_waitcnt vmcnt(4)
	v_mul_f32_e32 v9, v20, v12
	v_mul_f32_e32 v49, v20, v11
	v_fmac_f32_e32 v41, v17, v10
	v_fma_f32 v42, v19, v11, -v9
	v_fmac_f32_e32 v49, v19, v12
	ds_read2_b64 v[9:12], v5 offset1:252
	s_waitcnt vmcnt(3) lgkmcnt(1)
	v_mul_f32_e32 v17, v22, v16
	v_fma_f32 v19, v21, v15, -v17
	v_mul_f32_e32 v20, v22, v15
	v_mul_f32_e32 v15, v27, v14
	v_fma_f32 v17, v26, v13, -v15
	v_mul_f32_e32 v18, v27, v13
	s_waitcnt lgkmcnt(0)
	v_mul_f32_e32 v13, v10, v27
	v_fmac_f32_e32 v20, v21, v16
	v_fmac_f32_e32 v18, v26, v14
	v_fma_f32 v50, v9, v26, -v13
	ds_read2_b64 v[13:16], v6 offset1:252
	v_mul_f32_e32 v51, v9, v27
	s_waitcnt vmcnt(2)
	v_mul_f32_e32 v9, v12, v31
	v_fma_f32 v52, v11, v30, -v9
	v_mul_f32_e32 v53, v11, v31
	v_mul_i32_i24_e32 v11, 0xa8, v64
	v_fmac_f32_e32 v51, v10, v26
	ds_read_b64 v[9:10], v2
	v_add3_u32 v39, 0, v11, v1
	s_waitcnt vmcnt(1) lgkmcnt(1)
	v_mul_f32_e32 v11, v14, v33
	v_fma_f32 v54, v13, v32, -v11
	s_waitcnt vmcnt(0)
	v_mul_f32_e32 v11, v16, v35
	v_mul_f32_e32 v55, v13, v33
	v_fma_f32 v56, v15, v34, -v11
	v_mul_f32_e32 v57, v15, v35
	v_mul_i32_i24_e32 v11, 0xa8, v23
	v_mul_i32_i24_e32 v21, 0xa8, v36
	v_fmac_f32_e32 v53, v12, v30
	v_fmac_f32_e32 v55, v14, v32
	;; [unrolled: 1-line block ×3, first 2 shown]
	v_add3_u32 v58, 0, v11, v1
	ds_read_b64 v[11:12], v28
	ds_read_b64 v[13:14], v3
	;; [unrolled: 1-line block ×3, first 2 shown]
	v_add3_u32 v59, 0, v21, v1
	ds_read_b64 v[21:22], v29
	ds_read_b64 v[26:27], v4
	;; [unrolled: 1-line block ×4, first 2 shown]
	s_waitcnt lgkmcnt(7)
	v_sub_f32_e32 v17, v9, v17
	v_sub_f32_e32 v18, v10, v18
	v_fma_f32 v9, v9, 2.0, -v17
	v_fma_f32 v10, v10, 2.0, -v18
	s_waitcnt lgkmcnt(0)
	s_barrier
	ds_write_b64 v2, v[9:10]
	ds_write_b64 v2, v[17:18] offset:2688
	v_and_or_b32 v9, v40, s2, v37
	v_sub_f32_e32 v19, v11, v19
	v_sub_f32_e32 v20, v12, v20
	v_mul_u32_u24_e32 v9, 0xa8, v9
	v_sub_f32_e32 v37, v32, v56
	v_fma_f32 v11, v11, 2.0, -v19
	v_fma_f32 v12, v12, 2.0, -v20
	v_add3_u32 v9, 0, v9, v1
	v_sub_f32_e32 v10, v22, v41
	v_fma_f32 v41, v32, 2.0, -v37
	v_and_or_b32 v32, v71, s2, v43
	ds_write_b64 v9, v[11:12]
	ds_write_b64 v9, v[19:20] offset:2688
	v_sub_f32_e32 v9, v21, v38
	v_mul_u32_u24_e32 v32, 0xa8, v32
	v_fma_f32 v11, v21, 2.0, -v9
	v_fma_f32 v12, v22, 2.0, -v10
	v_add3_u32 v32, 0, v32, v1
	ds_write_b64 v32, v[11:12]
	ds_write_b64 v32, v[9:10] offset:2688
	v_and_or_b32 v9, v70, s2, v44
	v_sub_f32_e32 v17, v26, v42
	v_sub_f32_e32 v18, v27, v49
	v_mul_u32_u24_e32 v9, 0xa8, v9
	v_fma_f32 v19, v26, 2.0, -v17
	v_fma_f32 v20, v27, 2.0, -v18
	v_add3_u32 v9, 0, v9, v1
	ds_write_b64 v9, v[19:20]
	ds_write_b64 v9, v[17:18] offset:2688
	v_and_or_b32 v9, v69, s2, v62
	v_sub_f32_e32 v21, v13, v50
	v_sub_f32_e32 v22, v14, v51
	v_mul_u32_u24_e32 v9, 0xa8, v9
	v_fma_f32 v13, v13, 2.0, -v21
	v_fma_f32 v14, v14, 2.0, -v22
	v_add3_u32 v9, 0, v9, v1
	v_lshlrev_b32_e32 v32, 1, v64
	ds_write_b64 v9, v[13:14]
	ds_write_b64 v9, v[21:22] offset:2688
	v_and_or_b32 v9, v32, s2, v46
	v_sub_f32_e32 v26, v15, v52
	v_sub_f32_e32 v27, v16, v53
	v_mul_u32_u24_e32 v9, 0xa8, v9
	v_fma_f32 v15, v15, 2.0, -v26
	v_fma_f32 v16, v16, 2.0, -v27
	v_add3_u32 v9, 0, v9, v1
	v_lshlrev_b32_e32 v43, 1, v23
	ds_write_b64 v9, v[15:16]
	ds_write_b64 v9, v[26:27] offset:2688
	v_and_or_b32 v9, v43, s2, v47
	v_sub_f32_e32 v34, v30, v54
	v_sub_f32_e32 v35, v31, v55
	v_mul_u32_u24_e32 v9, 0xa8, v9
	v_fma_f32 v30, v30, 2.0, -v34
	v_fma_f32 v31, v31, 2.0, -v35
	v_add3_u32 v9, 0, v9, v1
	ds_write_b64 v9, v[30:31]
	ds_write_b64 v9, v[34:35] offset:2688
	v_lshlrev_b32_e32 v35, 1, v36
	v_and_or_b32 v9, v35, s2, v48
	v_sub_f32_e32 v38, v33, v57
	v_mul_u32_u24_e32 v9, 0xa8, v9
	v_fma_f32 v42, v33, 2.0, -v38
	v_add3_u32 v9, 0, v9, v1
	ds_write_b64 v9, v[41:42]
	ds_write_b64 v9, v[37:38] offset:2688
	s_waitcnt lgkmcnt(0)
	s_barrier
	global_load_dwordx2 v[13:14], v45, s[16:17] offset:224
	v_and_b32_e32 v37, 31, v66
	v_lshlrev_b32_e32 v9, 3, v37
	global_load_dwordx2 v[15:16], v9, s[16:17] offset:224
	v_and_b32_e32 v38, 31, v67
	v_lshlrev_b32_e32 v9, 3, v38
	;; [unrolled: 3-line block ×3, first 2 shown]
	v_and_b32_e32 v42, 31, v65
	global_load_dwordx2 v[19:20], v9, s[16:17] offset:224
	v_lshlrev_b32_e32 v9, 3, v42
	global_load_dwordx2 v[21:22], v9, s[16:17] offset:224
	v_and_b32_e32 v44, 31, v64
	v_lshlrev_b32_e32 v9, 3, v44
	v_and_b32_e32 v23, 31, v23
	global_load_dwordx2 v[26:27], v9, s[16:17] offset:224
	v_lshlrev_b32_e32 v9, 3, v23
	v_and_b32_e32 v36, 31, v36
	global_load_dwordx2 v[30:31], v9, s[16:17] offset:224
	v_lshlrev_b32_e32 v9, 3, v36
	global_load_dwordx2 v[33:34], v9, s[16:17] offset:224
	ds_read2_b64 v[9:12], v7 offset1:252
	s_movk_i32 s2, 0x3fc0
	s_waitcnt vmcnt(7) lgkmcnt(0)
	v_mul_f32_e32 v7, v14, v10
	v_mul_f32_e32 v46, v14, v9
	v_fma_f32 v45, v13, v9, -v7
	v_fmac_f32_e32 v46, v13, v10
	ds_read2_b64 v[7:10], v8 offset1:252
	s_waitcnt vmcnt(6)
	v_mul_f32_e32 v13, v16, v12
	v_fma_f32 v47, v15, v11, -v13
	v_mul_f32_e32 v16, v16, v11
	v_fmac_f32_e32 v16, v15, v12
	s_waitcnt vmcnt(5) lgkmcnt(0)
	v_mul_f32_e32 v11, v18, v8
	v_fma_f32 v48, v17, v7, -v11
	ds_read2_b64 v[11:14], v5 offset1:252
	s_waitcnt vmcnt(4)
	v_mul_f32_e32 v5, v20, v10
	v_mul_f32_e32 v49, v18, v7
	v_fma_f32 v50, v19, v9, -v5
	v_fmac_f32_e32 v49, v17, v8
	s_waitcnt vmcnt(3) lgkmcnt(0)
	v_mul_f32_e32 v5, v12, v22
	v_fma_f32 v52, v11, v21, -v5
	ds_read2_b64 v[5:8], v6 offset1:252
	v_mul_f32_e32 v51, v20, v9
	s_waitcnt vmcnt(2)
	v_mul_f32_e32 v9, v14, v27
	v_fma_f32 v54, v13, v26, -v9
	v_mul_f32_e32 v53, v11, v22
	s_waitcnt vmcnt(1) lgkmcnt(0)
	v_mul_f32_e32 v9, v6, v31
	v_fma_f32 v56, v5, v30, -v9
	v_mul_f32_e32 v57, v5, v31
	s_waitcnt vmcnt(0)
	v_mul_f32_e32 v5, v8, v34
	v_fmac_f32_e32 v57, v6, v30
	v_fma_f32 v60, v7, v33, -v5
	ds_read_b64 v[5:6], v2
	v_mul_f32_e32 v55, v13, v27
	v_mul_f32_e32 v61, v7, v34
	v_fmac_f32_e32 v51, v19, v10
	v_fmac_f32_e32 v53, v12, v21
	;; [unrolled: 1-line block ×4, first 2 shown]
	ds_read_b64 v[7:8], v28
	ds_read_b64 v[9:10], v3
	;; [unrolled: 1-line block ×3, first 2 shown]
	s_waitcnt lgkmcnt(3)
	v_sub_f32_e32 v13, v5, v45
	v_sub_f32_e32 v14, v6, v46
	v_fma_f32 v5, v5, 2.0, -v13
	v_fma_f32 v6, v6, 2.0, -v14
	ds_read_b64 v[17:18], v59
	ds_read_b64 v[19:20], v29
	;; [unrolled: 1-line block ×4, first 2 shown]
	s_waitcnt lgkmcnt(0)
	s_barrier
	ds_write_b64 v2, v[5:6]
	ds_write_b64 v2, v[13:14] offset:5376
	v_and_or_b32 v5, v40, s2, v37
	v_sub_f32_e32 v15, v7, v47
	v_sub_f32_e32 v16, v8, v16
	v_mul_u32_u24_e32 v5, 0xa8, v5
	v_fma_f32 v7, v7, 2.0, -v15
	v_fma_f32 v8, v8, 2.0, -v16
	v_add3_u32 v5, 0, v5, v1
	v_and_or_b32 v37, v71, s2, v38
	ds_write_b64 v5, v[7:8]
	ds_write_b64 v5, v[15:16] offset:5376
	v_sub_f32_e32 v5, v19, v48
	v_sub_f32_e32 v6, v20, v49
	v_mul_u32_u24_e32 v37, 0xa8, v37
	v_fma_f32 v7, v19, 2.0, -v5
	v_fma_f32 v8, v20, 2.0, -v6
	v_add3_u32 v37, 0, v37, v1
	ds_write_b64 v37, v[7:8]
	ds_write_b64 v37, v[5:6] offset:5376
	v_and_or_b32 v5, v70, s2, v41
	v_sub_f32_e32 v13, v26, v50
	v_sub_f32_e32 v14, v27, v51
	v_mul_u32_u24_e32 v5, 0xa8, v5
	v_fma_f32 v15, v26, 2.0, -v13
	v_fma_f32 v16, v27, 2.0, -v14
	v_add3_u32 v5, 0, v5, v1
	ds_write_b64 v5, v[15:16]
	ds_write_b64 v5, v[13:14] offset:5376
	v_and_or_b32 v5, v69, s2, v42
	;; [unrolled: 9-line block ×5, first 2 shown]
	v_sub_f32_e32 v26, v17, v60
	v_sub_f32_e32 v27, v18, v61
	v_mul_u32_u24_e32 v5, 0xa8, v5
	v_fma_f32 v17, v17, 2.0, -v26
	v_fma_f32 v18, v18, 2.0, -v27
	v_add3_u32 v1, 0, v5, v1
	ds_write_b64 v1, v[17:18]
	ds_write_b64 v1, v[26:27] offset:5376
	v_add_u32_e32 v1, 0x5400, v2
	s_waitcnt lgkmcnt(0)
	s_barrier
	ds_read2_b64 v[20:23], v1 offset1:252
	v_add_u32_e32 v1, 0x31e0, v2
	ds_read2_b64 v[16:19], v1 offset1:252
	v_add_u32_e32 v1, 0x63c0, v2
	ds_read2st64_b64 v[8:11], v2 offset1:21
	ds_read2_b64 v[12:15], v1 offset1:252
	ds_read_b64 v[30:31], v4
	v_add_u32_e32 v1, 0x41a0, v2
	ds_read2_b64 v[4:7], v1 offset1:252
	ds_read_b64 v[33:34], v29
	ds_read_b64 v[35:36], v28
	;; [unrolled: 1-line block ×3, first 2 shown]
	ds_read_b64 v[37:38], v2 offset:29568
	s_movk_i32 s2, 0x54
	v_lshlrev_b32_e32 v41, 1, v62
	v_cmp_gt_u32_e64 s[2:3], s2, v0
                                        ; implicit-def: $vgpr3
	s_and_saveexec_b64 s[18:19], s[2:3]
	s_cbranch_execz .LBB0_16
; %bb.15:
	v_add_u32_e32 v0, 0x160, v2
	ds_read_b64 v[26:27], v39
	ds_read2st64_b64 v[0:3], v0 offset0:40 offset1:61
.LBB0_16:
	s_or_b64 exec, exec, s[18:19]
	v_lshlrev_b32_e32 v39, 3, v41
	global_load_dwordx4 v[41:44], v39, s[16:17] offset:480
	s_load_dwordx2 s[4:5], s[4:5], 0x8
	v_mov_b32_e32 v56, 3
	v_mov_b32_e32 v57, 0x1000
	v_or_b32_e32 v72, 64, v62
	v_or_b32_e32 v73, 0x80, v62
	;; [unrolled: 1-line block ×4, first 2 shown]
	s_andn2_b64 vcc, exec, s[0:1]
	s_waitcnt vmcnt(0) lgkmcnt(0)
	v_mul_f32_e32 v39, v42, v11
	v_fma_f32 v45, v41, v10, -v39
	v_mul_f32_e32 v46, v42, v10
	v_mul_f32_e32 v10, v44, v21
	v_fma_f32 v47, v43, v20, -v10
	v_and_b32_e32 v10, 0x7e, v40
	v_lshlrev_b32_e32 v10, 3, v10
	v_fmac_f32_e32 v46, v41, v11
	global_load_dwordx4 v[39:42], v10, s[16:17] offset:480
	v_mul_f32_e32 v44, v44, v20
	v_fmac_f32_e32 v44, v43, v21
	s_waitcnt vmcnt(0)
	v_mul_f32_e32 v10, v40, v17
	v_fma_f32 v43, v39, v16, -v10
	v_mul_f32_e32 v40, v40, v16
	v_mul_f32_e32 v10, v42, v23
	v_fmac_f32_e32 v40, v39, v17
	v_fma_f32 v39, v41, v22, -v10
	v_and_b32_e32 v10, 0x7e, v71
	v_mul_f32_e32 v42, v42, v22
	v_lshlrev_b32_e32 v10, 3, v10
	v_fmac_f32_e32 v42, v41, v23
	global_load_dwordx4 v[20:23], v10, s[16:17] offset:480
	s_waitcnt vmcnt(0)
	v_mul_f32_e32 v10, v21, v19
	v_fma_f32 v41, v20, v18, -v10
	v_mul_f32_e32 v48, v21, v18
	v_mul_f32_e32 v10, v23, v13
	v_fmac_f32_e32 v48, v20, v19
	v_fma_f32 v20, v22, v12, -v10
	v_and_b32_e32 v10, 0x7e, v70
	v_mul_f32_e32 v49, v23, v12
	v_lshlrev_b32_e32 v10, 3, v10
	v_fmac_f32_e32 v49, v22, v13
	global_load_dwordx4 v[10:13], v10, s[16:17] offset:480
	s_waitcnt vmcnt(0)
	v_mul_f32_e32 v16, v11, v5
	v_fma_f32 v50, v10, v4, -v16
	v_mul_f32_e32 v51, v11, v4
	v_mul_f32_e32 v4, v15, v13
	v_fma_f32 v52, v14, v12, -v4
	v_and_b32_e32 v4, 0x7e, v69
	v_mul_f32_e32 v53, v14, v13
	v_lshlrev_b32_e32 v4, 3, v4
	v_fmac_f32_e32 v51, v10, v5
	v_fmac_f32_e32 v53, v15, v12
	global_load_dwordx4 v[10:13], v4, s[16:17] offset:480
	s_waitcnt vmcnt(0)
	v_mul_f32_e32 v4, v7, v11
	v_fma_f32 v54, v6, v10, -v4
	v_mul_f32_e32 v4, v38, v13
	v_mul_f32_e32 v55, v37, v13
	v_add_f32_e32 v13, v45, v47
	v_mul_f32_e32 v11, v6, v11
	v_fma_f32 v13, -0.5, v13, v8
	v_fmac_f32_e32 v11, v7, v10
	v_fma_f32 v10, v37, v12, -v4
	v_fmac_f32_e32 v55, v38, v12
	v_add_f32_e32 v12, v8, v45
	v_sub_f32_e32 v8, v46, v44
	v_mov_b32_e32 v58, v13
	v_fmac_f32_e32 v58, 0x3f5db3d7, v8
	v_fmac_f32_e32 v13, 0xbf5db3d7, v8
	v_add_f32_e32 v8, v9, v46
	v_add_f32_e32 v59, v8, v44
	;; [unrolled: 1-line block ×3, first 2 shown]
	v_fma_f32 v14, -0.5, v8, v9
	v_sub_f32_e32 v8, v45, v47
	v_mov_b32_e32 v46, v14
	v_fmac_f32_e32 v46, 0xbf5db3d7, v8
	v_fmac_f32_e32 v14, 0x3f5db3d7, v8
	v_add_f32_e32 v8, v35, v43
	v_add_f32_e32 v15, v8, v39
	;; [unrolled: 1-line block ×3, first 2 shown]
	v_fma_f32 v19, -0.5, v8, v35
	v_sub_f32_e32 v8, v40, v42
	v_mov_b32_e32 v17, v19
	v_fmac_f32_e32 v17, 0x3f5db3d7, v8
	v_fmac_f32_e32 v19, 0xbf5db3d7, v8
	v_add_f32_e32 v8, v36, v40
	v_add_f32_e32 v16, v8, v42
	v_add_f32_e32 v8, v40, v42
	v_fmac_f32_e32 v36, -0.5, v8
	v_sub_f32_e32 v8, v43, v39
	v_mov_b32_e32 v18, v36
	v_fmac_f32_e32 v18, 0xbf5db3d7, v8
	v_fmac_f32_e32 v36, 0x3f5db3d7, v8
	v_add_f32_e32 v8, v33, v41
	v_add_f32_e32 v21, v8, v20
	;; [unrolled: 1-line block ×3, first 2 shown]
	v_fma_f32 v33, -0.5, v8, v33
	v_sub_f32_e32 v8, v48, v49
	v_mov_b32_e32 v23, v33
	v_fmac_f32_e32 v23, 0x3f5db3d7, v8
	v_fmac_f32_e32 v33, 0xbf5db3d7, v8
	v_add_f32_e32 v8, v34, v48
	v_add_f32_e32 v22, v8, v49
	;; [unrolled: 1-line block ×3, first 2 shown]
	v_fmac_f32_e32 v34, -0.5, v8
	v_and_b32_e32 v4, 0x7e, v32
	v_sub_f32_e32 v8, v41, v20
	v_mov_b32_e32 v32, v34
	v_fmac_f32_e32 v32, 0xbf5db3d7, v8
	v_fmac_f32_e32 v34, 0x3f5db3d7, v8
	v_add_f32_e32 v8, v30, v50
	v_add_f32_e32 v35, v8, v52
	;; [unrolled: 1-line block ×3, first 2 shown]
	v_fma_f32 v30, -0.5, v8, v30
	v_sub_f32_e32 v8, v51, v53
	v_mov_b32_e32 v37, v30
	v_fmac_f32_e32 v37, 0x3f5db3d7, v8
	v_fmac_f32_e32 v30, 0xbf5db3d7, v8
	v_add_f32_e32 v8, v31, v51
	v_add_f32_e32 v39, v8, v53
	;; [unrolled: 1-line block ×3, first 2 shown]
	v_fmac_f32_e32 v31, -0.5, v8
	v_sub_f32_e32 v8, v50, v52
	v_mov_b32_e32 v38, v31
	v_fmac_f32_e32 v38, 0xbf5db3d7, v8
	v_fmac_f32_e32 v31, 0x3f5db3d7, v8
	v_add_f32_e32 v8, v28, v54
	v_add_f32_e32 v40, v8, v10
	;; [unrolled: 1-line block ×3, first 2 shown]
	v_fma_f32 v28, -0.5, v8, v28
	v_sub_f32_e32 v8, v11, v55
	v_mov_b32_e32 v41, v28
	v_fmac_f32_e32 v41, 0x3f5db3d7, v8
	v_fmac_f32_e32 v28, 0xbf5db3d7, v8
	v_add_f32_e32 v8, v29, v11
	v_mul_lo_u32 v20, v24, v62
	v_add_f32_e32 v43, v8, v55
	v_add_f32_e32 v8, v11, v55
	v_fmac_f32_e32 v29, -0.5, v8
	v_sub_f32_e32 v8, v54, v10
	v_mov_b32_e32 v42, v29
	v_fmac_f32_e32 v42, 0xbf5db3d7, v8
	v_fmac_f32_e32 v29, 0x3f5db3d7, v8
	v_lshlrev_b32_sdwa v8, v56, v20 dst_sel:DWORD dst_unused:UNUSED_PAD src0_sel:DWORD src1_sel:BYTE_0
	v_lshlrev_b32_sdwa v10, v56, v20 dst_sel:DWORD dst_unused:UNUSED_PAD src0_sel:DWORD src1_sel:BYTE_1
	global_load_dwordx2 v[8:9], v8, s[4:5]
	v_add_f32_e32 v12, v12, v47
	global_load_dwordx2 v[10:11], v10, s[4:5] offset:2048
	v_and_b32_e32 v54, 63, v64
	v_lshlrev_b32_e32 v4, 3, v4
	global_load_dwordx4 v[4:7], v4, s[16:17] offset:480
	s_movk_i32 s16, 0x80
	s_waitcnt vmcnt(1)
	v_mul_f32_e32 v44, v9, v11
	v_fma_f32 v44, v8, v10, -v44
	v_mul_f32_e32 v11, v8, v11
	v_bfe_u32 v8, v20, 16, 8
	v_lshl_or_b32 v8, v8, 3, v57
	v_fmac_f32_e32 v11, v9, v10
	global_load_dwordx2 v[8:9], v8, s[4:5]
	s_waitcnt vmcnt(0)
	v_mul_f32_e32 v10, v11, v9
	v_mul_f32_e32 v9, v44, v9
	v_fmac_f32_e32 v9, v8, v11
	v_fma_f32 v10, v8, v44, -v10
	v_mul_f32_e32 v8, v59, v9
	v_fma_f32 v8, v12, v10, -v8
	v_mul_f32_e32 v9, v12, v9
	v_mul_lo_u32 v12, v24, v72
	v_fmac_f32_e32 v9, v59, v10
	v_lshlrev_b32_sdwa v10, v56, v12 dst_sel:DWORD dst_unused:UNUSED_PAD src0_sel:DWORD src1_sel:BYTE_0
	v_lshlrev_b32_sdwa v20, v56, v12 dst_sel:DWORD dst_unused:UNUSED_PAD src0_sel:DWORD src1_sel:BYTE_1
	global_load_dwordx2 v[10:11], v10, s[4:5]
	s_nop 0
	global_load_dwordx2 v[44:45], v20, s[4:5] offset:2048
	s_waitcnt vmcnt(0)
	v_mul_f32_e32 v20, v11, v45
	v_fma_f32 v20, v10, v44, -v20
	v_mul_f32_e32 v45, v10, v45
	v_bfe_u32 v10, v12, 16, 8
	v_lshl_or_b32 v10, v10, 3, v57
	v_fmac_f32_e32 v45, v11, v44
	global_load_dwordx2 v[10:11], v10, s[4:5]
	s_waitcnt vmcnt(0)
	v_mul_f32_e32 v12, v45, v11
	v_mul_f32_e32 v11, v20, v11
	v_fmac_f32_e32 v11, v10, v45
	v_fma_f32 v12, v10, v20, -v12
	v_mul_f32_e32 v10, v46, v11
	v_mul_f32_e32 v11, v58, v11
	v_fma_f32 v10, v58, v12, -v10
	v_fmac_f32_e32 v11, v46, v12
	v_mul_lo_u32 v12, v24, v73
	v_lshlrev_b32_sdwa v20, v56, v12 dst_sel:DWORD dst_unused:UNUSED_PAD src0_sel:DWORD src1_sel:BYTE_0
	global_load_dwordx2 v[44:45], v20, s[4:5]
	v_lshlrev_b32_sdwa v20, v56, v12 dst_sel:DWORD dst_unused:UNUSED_PAD src0_sel:DWORD src1_sel:BYTE_1
	global_load_dwordx2 v[46:47], v20, s[4:5] offset:2048
	v_bfe_u32 v12, v12, 16, 8
	v_lshl_or_b32 v12, v12, 3, v57
	s_waitcnt vmcnt(0)
	v_mul_f32_e32 v20, v45, v47
	v_mul_f32_e32 v47, v44, v47
	v_fma_f32 v20, v44, v46, -v20
	v_fmac_f32_e32 v47, v45, v46
	global_load_dwordx2 v[44:45], v12, s[4:5]
	s_waitcnt vmcnt(0)
	v_mul_f32_e32 v12, v47, v45
	v_fma_f32 v46, v44, v20, -v12
	v_mul_f32_e32 v20, v20, v45
	v_fmac_f32_e32 v20, v44, v47
	v_mul_f32_e32 v12, v14, v20
	v_fma_f32 v12, v13, v46, -v12
	v_mul_f32_e32 v13, v13, v20
	v_fmac_f32_e32 v13, v14, v46
	v_mul_lo_u32 v14, v24, v66
	v_lshlrev_b32_sdwa v20, v56, v14 dst_sel:DWORD dst_unused:UNUSED_PAD src0_sel:DWORD src1_sel:BYTE_0
	global_load_dwordx2 v[44:45], v20, s[4:5]
	v_lshlrev_b32_sdwa v20, v56, v14 dst_sel:DWORD dst_unused:UNUSED_PAD src0_sel:DWORD src1_sel:BYTE_1
	global_load_dwordx2 v[46:47], v20, s[4:5] offset:2048
	v_bfe_u32 v14, v14, 16, 8
	v_lshl_or_b32 v14, v14, 3, v57
	s_waitcnt vmcnt(0)
	v_mul_f32_e32 v20, v45, v47
	v_mul_f32_e32 v47, v44, v47
	v_fma_f32 v20, v44, v46, -v20
	v_fmac_f32_e32 v47, v45, v46
	global_load_dwordx2 v[44:45], v14, s[4:5]
	s_waitcnt vmcnt(0)
	v_mul_f32_e32 v14, v47, v45
	v_fma_f32 v46, v44, v20, -v14
	v_mul_f32_e32 v20, v20, v45
	v_fmac_f32_e32 v20, v44, v47
	v_mul_f32_e32 v14, v16, v20
	v_fma_f32 v14, v15, v46, -v14
	v_mul_f32_e32 v15, v15, v20
	;; [unrolled: 22-line block ×4, first 2 shown]
	v_fmac_f32_e32 v19, v36, v46
	v_and_b32_e32 v36, 63, v67
	v_mul_lo_u32 v20, v24, v36
	v_lshlrev_b32_sdwa v44, v56, v20 dst_sel:DWORD dst_unused:UNUSED_PAD src0_sel:DWORD src1_sel:BYTE_0
	v_lshlrev_b32_sdwa v46, v56, v20 dst_sel:DWORD dst_unused:UNUSED_PAD src0_sel:DWORD src1_sel:BYTE_1
	global_load_dwordx2 v[44:45], v44, s[4:5]
	v_bfe_u32 v20, v20, 16, 8
	global_load_dwordx2 v[46:47], v46, s[4:5] offset:2048
	v_lshl_or_b32 v20, v20, 3, v57
	s_waitcnt vmcnt(0)
	v_mul_f32_e32 v48, v45, v47
	v_mul_f32_e32 v47, v44, v47
	v_fma_f32 v48, v44, v46, -v48
	v_fmac_f32_e32 v47, v45, v46
	global_load_dwordx2 v[44:45], v20, s[4:5]
	s_waitcnt vmcnt(0)
	v_mul_f32_e32 v20, v47, v45
	v_mul_f32_e32 v45, v48, v45
	v_fmac_f32_e32 v45, v44, v47
	v_fma_f32 v46, v44, v48, -v20
	v_mul_f32_e32 v20, v22, v45
	v_fma_f32 v20, v21, v46, -v20
	v_mul_f32_e32 v21, v21, v45
	v_fmac_f32_e32 v21, v22, v46
	v_or_b32_e32 v22, 64, v36
	v_mul_lo_u32 v22, v24, v22
	v_lshlrev_b32_sdwa v44, v56, v22 dst_sel:DWORD dst_unused:UNUSED_PAD src0_sel:DWORD src1_sel:BYTE_0
	v_lshlrev_b32_sdwa v46, v56, v22 dst_sel:DWORD dst_unused:UNUSED_PAD src0_sel:DWORD src1_sel:BYTE_1
	global_load_dwordx2 v[44:45], v44, s[4:5]
	v_bfe_u32 v22, v22, 16, 8
	global_load_dwordx2 v[46:47], v46, s[4:5] offset:2048
	v_lshl_or_b32 v22, v22, 3, v57
	s_waitcnt vmcnt(0)
	v_mul_f32_e32 v48, v45, v47
	v_mul_f32_e32 v47, v44, v47
	v_fma_f32 v48, v44, v46, -v48
	v_fmac_f32_e32 v47, v45, v46
	global_load_dwordx2 v[44:45], v22, s[4:5]
	s_waitcnt vmcnt(0)
	v_mul_f32_e32 v22, v47, v45
	v_mul_f32_e32 v45, v48, v45
	v_fmac_f32_e32 v45, v44, v47
	v_fma_f32 v46, v44, v48, -v22
	v_mul_f32_e32 v22, v32, v45
	v_fma_f32 v22, v23, v46, -v22
	v_mul_f32_e32 v23, v23, v45
	v_fmac_f32_e32 v23, v32, v46
	v_or_b32_e32 v32, 0x80, v36
	v_mul_lo_u32 v32, v24, v32
	v_and_b32_e32 v48, 63, v68
	v_lshlrev_b32_sdwa v36, v56, v32 dst_sel:DWORD dst_unused:UNUSED_PAD src0_sel:DWORD src1_sel:BYTE_0
	global_load_dwordx2 v[44:45], v36, s[4:5]
	v_lshlrev_b32_sdwa v36, v56, v32 dst_sel:DWORD dst_unused:UNUSED_PAD src0_sel:DWORD src1_sel:BYTE_1
	global_load_dwordx2 v[46:47], v36, s[4:5] offset:2048
	v_bfe_u32 v32, v32, 16, 8
	v_lshl_or_b32 v32, v32, 3, v57
	s_waitcnt vmcnt(0)
	v_mul_f32_e32 v36, v45, v47
	v_mul_f32_e32 v47, v44, v47
	v_fma_f32 v36, v44, v46, -v36
	v_fmac_f32_e32 v47, v45, v46
	global_load_dwordx2 v[44:45], v32, s[4:5]
	s_waitcnt vmcnt(0)
	v_mul_f32_e32 v32, v47, v45
	v_fma_f32 v46, v44, v36, -v32
	v_mul_f32_e32 v36, v36, v45
	v_fmac_f32_e32 v36, v44, v47
	v_mul_f32_e32 v32, v34, v36
	v_fma_f32 v32, v33, v46, -v32
	v_mul_f32_e32 v33, v33, v36
	v_fmac_f32_e32 v33, v34, v46
	v_mul_lo_u32 v34, v24, v48
	v_lshlrev_b32_sdwa v36, v56, v34 dst_sel:DWORD dst_unused:UNUSED_PAD src0_sel:DWORD src1_sel:BYTE_0
	global_load_dwordx2 v[44:45], v36, s[4:5]
	v_lshlrev_b32_sdwa v36, v56, v34 dst_sel:DWORD dst_unused:UNUSED_PAD src0_sel:DWORD src1_sel:BYTE_1
	global_load_dwordx2 v[46:47], v36, s[4:5] offset:2048
	v_bfe_u32 v34, v34, 16, 8
	v_lshl_or_b32 v34, v34, 3, v57
	s_waitcnt vmcnt(0)
	v_mul_f32_e32 v36, v45, v47
	v_mul_f32_e32 v47, v44, v47
	v_fma_f32 v36, v44, v46, -v36
	v_fmac_f32_e32 v47, v45, v46
	global_load_dwordx2 v[44:45], v34, s[4:5]
	s_waitcnt vmcnt(0)
	v_mul_f32_e32 v34, v47, v45
	v_fma_f32 v46, v44, v36, -v34
	v_mul_f32_e32 v36, v36, v45
	v_fmac_f32_e32 v36, v44, v47
	v_mul_f32_e32 v34, v39, v36
	v_fma_f32 v34, v35, v46, -v34
	v_mul_f32_e32 v35, v35, v36
	v_or_b32_e32 v36, 64, v48
	v_mul_lo_u32 v36, v24, v36
	v_fmac_f32_e32 v35, v39, v46
	v_lshlrev_b32_sdwa v39, v56, v36 dst_sel:DWORD dst_unused:UNUSED_PAD src0_sel:DWORD src1_sel:BYTE_0
	global_load_dwordx2 v[44:45], v39, s[4:5]
	v_lshlrev_b32_sdwa v39, v56, v36 dst_sel:DWORD dst_unused:UNUSED_PAD src0_sel:DWORD src1_sel:BYTE_1
	global_load_dwordx2 v[46:47], v39, s[4:5] offset:2048
	v_bfe_u32 v36, v36, 16, 8
	v_lshl_or_b32 v36, v36, 3, v57
	s_waitcnt vmcnt(0)
	v_mul_f32_e32 v39, v45, v47
	v_mul_f32_e32 v47, v44, v47
	v_fma_f32 v39, v44, v46, -v39
	v_fmac_f32_e32 v47, v45, v46
	global_load_dwordx2 v[44:45], v36, s[4:5]
	s_waitcnt vmcnt(0)
	v_mul_f32_e32 v36, v47, v45
	v_fma_f32 v46, v44, v39, -v36
	v_mul_f32_e32 v39, v39, v45
	v_fmac_f32_e32 v39, v44, v47
	v_mul_f32_e32 v36, v38, v39
	v_fma_f32 v36, v37, v46, -v36
	v_mul_f32_e32 v37, v37, v39
	v_fmac_f32_e32 v37, v38, v46
	v_or_b32_e32 v38, 0x80, v48
	v_mul_lo_u32 v46, v24, v38
	v_lshlrev_b32_sdwa v38, v56, v46 dst_sel:DWORD dst_unused:UNUSED_PAD src0_sel:DWORD src1_sel:BYTE_0
	v_lshlrev_b32_sdwa v44, v56, v46 dst_sel:DWORD dst_unused:UNUSED_PAD src0_sel:DWORD src1_sel:BYTE_1
	global_load_dwordx2 v[38:39], v38, s[4:5]
	s_nop 0
	global_load_dwordx2 v[44:45], v44, s[4:5] offset:2048
	s_waitcnt vmcnt(0)
	v_mul_f32_e32 v47, v39, v45
	v_fma_f32 v47, v38, v44, -v47
	v_mul_f32_e32 v45, v38, v45
	v_bfe_u32 v38, v46, 16, 8
	v_lshl_or_b32 v38, v38, 3, v57
	v_fmac_f32_e32 v45, v39, v44
	global_load_dwordx2 v[38:39], v38, s[4:5]
	s_waitcnt vmcnt(0)
	v_mul_f32_e32 v44, v45, v39
	v_fma_f32 v44, v38, v47, -v44
	v_mul_f32_e32 v39, v47, v39
	v_and_b32_e32 v47, 63, v65
	v_mul_lo_u32 v46, v24, v47
	v_fmac_f32_e32 v39, v38, v45
	v_mul_f32_e32 v38, v31, v39
	v_mul_f32_e32 v39, v30, v39
	v_fma_f32 v38, v30, v44, -v38
	v_fmac_f32_e32 v39, v31, v44
	v_lshlrev_b32_sdwa v30, v56, v46 dst_sel:DWORD dst_unused:UNUSED_PAD src0_sel:DWORD src1_sel:BYTE_0
	v_lshlrev_b32_sdwa v44, v56, v46 dst_sel:DWORD dst_unused:UNUSED_PAD src0_sel:DWORD src1_sel:BYTE_1
	global_load_dwordx2 v[30:31], v30, s[4:5]
	s_nop 0
	global_load_dwordx2 v[44:45], v44, s[4:5] offset:2048
	s_waitcnt vmcnt(0)
	v_mul_f32_e32 v48, v31, v45
	v_fma_f32 v48, v30, v44, -v48
	v_mul_f32_e32 v45, v30, v45
	v_bfe_u32 v30, v46, 16, 8
	v_lshl_or_b32 v30, v30, 3, v57
	v_fmac_f32_e32 v45, v31, v44
	global_load_dwordx2 v[30:31], v30, s[4:5]
	s_waitcnt vmcnt(0)
	v_mul_f32_e32 v44, v45, v31
	v_mul_f32_e32 v31, v48, v31
	v_fmac_f32_e32 v31, v30, v45
	v_fma_f32 v44, v30, v48, -v44
	v_mul_f32_e32 v30, v43, v31
	v_fma_f32 v30, v40, v44, -v30
	v_mul_f32_e32 v31, v40, v31
	v_or_b32_e32 v40, 64, v47
	v_mul_lo_u32 v40, v24, v40
	v_fmac_f32_e32 v31, v43, v44
	v_lshlrev_b32_sdwa v43, v56, v40 dst_sel:DWORD dst_unused:UNUSED_PAD src0_sel:DWORD src1_sel:BYTE_0
	v_lshlrev_b32_sdwa v45, v56, v40 dst_sel:DWORD dst_unused:UNUSED_PAD src0_sel:DWORD src1_sel:BYTE_1
	global_load_dwordx2 v[43:44], v43, s[4:5]
	v_bfe_u32 v40, v40, 16, 8
	global_load_dwordx2 v[45:46], v45, s[4:5] offset:2048
	v_lshl_or_b32 v40, v40, 3, v57
	s_waitcnt vmcnt(0)
	v_mul_f32_e32 v48, v44, v46
	v_mul_f32_e32 v46, v43, v46
	v_fma_f32 v48, v43, v45, -v48
	v_fmac_f32_e32 v46, v44, v45
	global_load_dwordx2 v[43:44], v40, s[4:5]
	s_waitcnt vmcnt(0)
	v_mul_f32_e32 v40, v46, v44
	v_mul_f32_e32 v44, v48, v44
	v_fmac_f32_e32 v44, v43, v46
	v_fma_f32 v45, v43, v48, -v40
	v_mul_f32_e32 v40, v42, v44
	v_fma_f32 v40, v41, v45, -v40
	v_mul_f32_e32 v41, v41, v44
	v_fmac_f32_e32 v41, v42, v45
	v_or_b32_e32 v42, 0x80, v47
	v_mul_lo_u32 v46, v24, v42
	v_or_b32_e32 v48, 64, v54
	v_mul_lo_u32 v50, v24, v48
	v_lshlrev_b32_sdwa v42, v56, v46 dst_sel:DWORD dst_unused:UNUSED_PAD src0_sel:DWORD src1_sel:BYTE_0
	v_lshlrev_b32_sdwa v44, v56, v46 dst_sel:DWORD dst_unused:UNUSED_PAD src0_sel:DWORD src1_sel:BYTE_1
	global_load_dwordx2 v[42:43], v42, s[4:5]
	v_lshlrev_b32_sdwa v48, v56, v50 dst_sel:DWORD dst_unused:UNUSED_PAD src0_sel:DWORD src1_sel:BYTE_0
	global_load_dwordx2 v[44:45], v44, s[4:5] offset:2048
	v_lshlrev_b32_sdwa v51, v56, v50 dst_sel:DWORD dst_unused:UNUSED_PAD src0_sel:DWORD src1_sel:BYTE_1
	v_bfe_u32 v50, v50, 16, 8
	v_lshl_or_b32 v50, v50, 3, v57
	global_load_dwordx2 v[52:53], v51, s[4:5] offset:2048
	s_nop 0
	global_load_dwordx2 v[50:51], v50, s[4:5]
	s_waitcnt vmcnt(2)
	v_mul_f32_e32 v47, v43, v45
	v_fma_f32 v47, v42, v44, -v47
	v_mul_f32_e32 v45, v42, v45
	v_bfe_u32 v42, v46, 16, 8
	v_lshl_or_b32 v42, v42, 3, v57
	v_fmac_f32_e32 v45, v43, v44
	global_load_dwordx2 v[42:43], v42, s[4:5]
	v_mul_lo_u32 v46, v24, v54
	global_load_dwordx2 v[48:49], v48, s[4:5]
	v_or_b32_e32 v54, 0x80, v54
	v_mul_lo_u32 v60, v24, v54
	v_lshlrev_b32_sdwa v54, v56, v60 dst_sel:DWORD dst_unused:UNUSED_PAD src0_sel:DWORD src1_sel:BYTE_0
	global_load_dwordx2 v[54:55], v54, s[4:5]
	s_waitcnt vmcnt(2)
	v_mul_f32_e32 v44, v45, v43
	v_mul_f32_e32 v43, v47, v43
	v_fmac_f32_e32 v43, v42, v45
	v_fma_f32 v44, v42, v47, -v44
	v_mul_f32_e32 v42, v29, v43
	v_mul_f32_e32 v43, v28, v43
	v_fma_f32 v42, v28, v44, -v42
	v_fmac_f32_e32 v43, v29, v44
	v_lshlrev_b32_sdwa v28, v56, v46 dst_sel:DWORD dst_unused:UNUSED_PAD src0_sel:DWORD src1_sel:BYTE_0
	v_lshlrev_b32_sdwa v44, v56, v46 dst_sel:DWORD dst_unused:UNUSED_PAD src0_sel:DWORD src1_sel:BYTE_1
	v_lshlrev_b32_sdwa v56, v56, v60 dst_sel:DWORD dst_unused:UNUSED_PAD src0_sel:DWORD src1_sel:BYTE_1
	v_bfe_u32 v46, v46, 16, 8
	global_load_dwordx2 v[58:59], v56, s[4:5] offset:2048
	v_bfe_u32 v56, v60, 16, 8
	v_lshl_or_b32 v46, v46, 3, v57
	v_lshl_or_b32 v56, v56, 3, v57
	global_load_dwordx2 v[28:29], v28, s[4:5]
	s_nop 0
	global_load_dwordx2 v[44:45], v44, s[4:5] offset:2048
	s_nop 0
	global_load_dwordx2 v[46:47], v46, s[4:5]
	s_nop 0
	global_load_dwordx2 v[56:57], v56, s[4:5]
	s_cbranch_vccnz .LBB0_18
; %bb.17:
	v_mad_u64_u32 v[60:61], s[0:1], s12, v63, 0
	v_mad_u64_u32 v[76:77], s[0:1], s8, v62, 0
	;; [unrolled: 1-line block ×3, first 2 shown]
	v_mov_b32_e32 v61, v77
	v_mad_u64_u32 v[79:80], s[0:1], s9, v62, v[61:62]
	v_mov_b32_e32 v61, v78
	s_lshl_b64 s[0:1], s[6:7], 3
	s_add_u32 s0, s14, s0
	v_lshlrev_b64 v[60:61], 3, v[60:61]
	s_addc_u32 s1, s15, s1
	v_mov_b32_e32 v78, s1
	v_add_co_u32_e32 v60, vcc, s0, v60
	v_mov_b32_e32 v77, v79
	v_addc_co_u32_e32 v61, vcc, v78, v61, vcc
	v_mad_u64_u32 v[78:79], s[0:1], s8, v72, 0
	v_lshlrev_b64 v[76:77], 3, v[76:77]
	v_and_or_b32 v82, v71, s16, v67
	v_mad_u64_u32 v[79:80], s[0:1], s9, v72, v[79:80]
	v_mad_u64_u32 v[80:81], s[0:1], s8, v73, 0
	v_add_co_u32_e32 v76, vcc, v60, v76
	v_addc_co_u32_e32 v77, vcc, v61, v77, vcc
	global_store_dwordx2 v[76:77], v[8:9], off
	v_lshlrev_b64 v[76:77], 3, v[78:79]
	v_mov_b32_e32 v78, v81
	v_mad_u64_u32 v[78:79], s[0:1], s9, v73, v[78:79]
	v_add_co_u32_e32 v76, vcc, v60, v76
	v_mov_b32_e32 v81, v78
	v_mad_u64_u32 v[78:79], s[0:1], s8, v66, 0
	v_addc_co_u32_e32 v77, vcc, v61, v77, vcc
	global_store_dwordx2 v[76:77], v[10:11], off
	v_lshlrev_b64 v[76:77], 3, v[80:81]
	v_mad_u64_u32 v[79:80], s[0:1], s9, v66, v[79:80]
	v_mad_u64_u32 v[80:81], s[0:1], s8, v74, 0
	v_add_co_u32_e32 v76, vcc, v60, v76
	v_addc_co_u32_e32 v77, vcc, v61, v77, vcc
	global_store_dwordx2 v[76:77], v[12:13], off
	v_lshlrev_b64 v[76:77], 3, v[78:79]
	v_mov_b32_e32 v78, v81
	v_mad_u64_u32 v[78:79], s[0:1], s9, v74, v[78:79]
	v_add_co_u32_e32 v76, vcc, v60, v76
	v_mov_b32_e32 v81, v78
	v_mad_u64_u32 v[78:79], s[0:1], s8, v75, 0
	v_addc_co_u32_e32 v77, vcc, v61, v77, vcc
	global_store_dwordx2 v[76:77], v[14:15], off
	v_lshlrev_b64 v[76:77], 3, v[80:81]
	v_mad_u64_u32 v[79:80], s[0:1], s9, v75, v[79:80]
	v_mad_u64_u32 v[80:81], s[0:1], s8, v82, 0
	v_add_co_u32_e32 v76, vcc, v60, v76
	v_addc_co_u32_e32 v77, vcc, v61, v77, vcc
	global_store_dwordx2 v[76:77], v[16:17], off
	v_lshlrev_b64 v[76:77], 3, v[78:79]
	v_mov_b32_e32 v78, v81
	v_mad_u64_u32 v[78:79], s[0:1], s9, v82, v[78:79]
	v_add_co_u32_e32 v76, vcc, v60, v76
	v_addc_co_u32_e32 v77, vcc, v61, v77, vcc
	v_mov_b32_e32 v81, v78
	global_store_dwordx2 v[76:77], v[18:19], off
	v_lshlrev_b64 v[76:77], 3, v[80:81]
	v_add_u32_e32 v80, 64, v82
	v_mad_u64_u32 v[78:79], s[0:1], s8, v80, 0
	v_add_u32_e32 v82, 0x80, v82
	v_add_co_u32_e32 v76, vcc, v60, v76
	v_mad_u64_u32 v[79:80], s[0:1], s9, v80, v[79:80]
	v_mad_u64_u32 v[80:81], s[0:1], s8, v82, 0
	v_addc_co_u32_e32 v77, vcc, v61, v77, vcc
	global_store_dwordx2 v[76:77], v[20:21], off
	v_lshlrev_b64 v[76:77], 3, v[78:79]
	v_mov_b32_e32 v78, v81
	v_mad_u64_u32 v[78:79], s[0:1], s9, v82, v[78:79]
	v_and_or_b32 v82, v70, s16, v68
	v_add_co_u32_e32 v76, vcc, v60, v76
	v_mov_b32_e32 v81, v78
	v_mad_u64_u32 v[78:79], s[0:1], s8, v82, 0
	v_addc_co_u32_e32 v77, vcc, v61, v77, vcc
	global_store_dwordx2 v[76:77], v[22:23], off
	v_lshlrev_b64 v[76:77], 3, v[80:81]
	v_mad_u64_u32 v[79:80], s[0:1], s9, v82, v[79:80]
	v_add_u32_e32 v83, 64, v82
	v_mad_u64_u32 v[80:81], s[0:1], s8, v83, 0
	v_add_co_u32_e32 v76, vcc, v60, v76
	v_addc_co_u32_e32 v77, vcc, v61, v77, vcc
	global_store_dwordx2 v[76:77], v[32:33], off
	v_lshlrev_b64 v[76:77], 3, v[78:79]
	v_mov_b32_e32 v78, v81
	v_mad_u64_u32 v[78:79], s[0:1], s9, v83, v[78:79]
	v_add_co_u32_e32 v76, vcc, v60, v76
	v_addc_co_u32_e32 v77, vcc, v61, v77, vcc
	v_mov_b32_e32 v81, v78
	global_store_dwordx2 v[76:77], v[34:35], off
	v_lshlrev_b64 v[76:77], 3, v[80:81]
	v_add_u32_e32 v80, 0x80, v82
	v_mad_u64_u32 v[78:79], s[0:1], s8, v80, 0
	v_and_or_b32 v82, v69, s16, v65
	v_add_co_u32_e32 v76, vcc, v60, v76
	v_mad_u64_u32 v[79:80], s[0:1], s9, v80, v[79:80]
	v_mad_u64_u32 v[80:81], s[0:1], s8, v82, 0
	v_addc_co_u32_e32 v77, vcc, v61, v77, vcc
	global_store_dwordx2 v[76:77], v[36:37], off
	v_lshlrev_b64 v[76:77], 3, v[78:79]
	v_mov_b32_e32 v78, v81
	v_mad_u64_u32 v[78:79], s[0:1], s9, v82, v[78:79]
	v_add_co_u32_e32 v76, vcc, v60, v76
	v_addc_co_u32_e32 v77, vcc, v61, v77, vcc
	v_mov_b32_e32 v81, v78
	global_store_dwordx2 v[76:77], v[38:39], off
	v_lshlrev_b64 v[76:77], 3, v[80:81]
	v_add_u32_e32 v80, 64, v82
	v_mad_u64_u32 v[78:79], s[0:1], s8, v80, 0
	v_add_u32_e32 v82, 0x80, v82
	v_add_co_u32_e32 v76, vcc, v60, v76
	v_mad_u64_u32 v[79:80], s[0:1], s9, v80, v[79:80]
	v_mad_u64_u32 v[80:81], s[0:1], s8, v82, 0
	v_addc_co_u32_e32 v77, vcc, v61, v77, vcc
	global_store_dwordx2 v[76:77], v[30:31], off
	v_lshlrev_b64 v[76:77], 3, v[78:79]
	v_mov_b32_e32 v78, v81
	v_mad_u64_u32 v[78:79], s[0:1], s9, v82, v[78:79]
	v_add_co_u32_e32 v76, vcc, v60, v76
	v_addc_co_u32_e32 v77, vcc, v61, v77, vcc
	v_mov_b32_e32 v81, v78
	global_store_dwordx2 v[76:77], v[40:41], off
	v_lshlrev_b64 v[76:77], 3, v[80:81]
	v_add_co_u32_e32 v76, vcc, v60, v76
	v_addc_co_u32_e32 v77, vcc, v61, v77, vcc
	s_and_b64 s[0:1], s[2:3], exec
	global_store_dwordx2 v[76:77], v[42:43], off
	s_cbranch_execz .LBB0_19
	s_branch .LBB0_22
.LBB0_18:
	s_mov_b64 s[0:1], 0
                                        ; implicit-def: $vgpr60_vgpr61
.LBB0_19:
	v_cmp_gt_u64_e32 vcc, s[10:11], v[24:25]
                                        ; implicit-def: $vgpr60_vgpr61
	s_and_saveexec_b64 s[4:5], vcc
	s_cbranch_execz .LBB0_21
; %bb.20:
	v_mad_u64_u32 v[24:25], s[10:11], s12, v63, 0
	v_mad_u64_u32 v[76:77], s[10:11], s8, v62, 0
	;; [unrolled: 1-line block ×3, first 2 shown]
	v_mov_b32_e32 v25, v77
	v_mad_u64_u32 v[77:78], s[10:11], s9, v62, v[25:26]
	v_mov_b32_e32 v25, v60
	s_lshl_b64 s[6:7], s[6:7], 3
	s_add_u32 s6, s14, s6
	v_lshlrev_b64 v[24:25], 3, v[24:25]
	s_addc_u32 s7, s15, s7
	v_mov_b32_e32 v61, s7
	v_add_co_u32_e32 v60, vcc, s6, v24
	v_addc_co_u32_e32 v61, vcc, v61, v25, vcc
	v_lshlrev_b64 v[24:25], 3, v[76:77]
	v_mad_u64_u32 v[76:77], s[6:7], s8, v72, 0
	v_add_co_u32_e32 v24, vcc, v60, v24
	v_mov_b32_e32 v63, v77
	v_mad_u64_u32 v[77:78], s[6:7], s9, v72, v[63:64]
	v_addc_co_u32_e32 v25, vcc, v61, v25, vcc
	v_mad_u64_u32 v[78:79], s[6:7], s8, v73, 0
	global_store_dwordx2 v[24:25], v[8:9], off
	v_lshlrev_b64 v[8:9], 3, v[76:77]
	v_mov_b32_e32 v24, v79
	v_add_co_u32_e32 v8, vcc, v60, v8
	v_addc_co_u32_e32 v9, vcc, v61, v9, vcc
	v_mad_u64_u32 v[24:25], s[6:7], s9, v73, v[24:25]
	global_store_dwordx2 v[8:9], v[10:11], off
	v_mad_u64_u32 v[10:11], s[6:7], s8, v66, 0
	v_mov_b32_e32 v79, v24
	v_lshlrev_b64 v[8:9], 3, v[78:79]
	v_mad_u64_u32 v[24:25], s[6:7], s9, v66, v[11:12]
	v_mad_u64_u32 v[72:73], s[6:7], s8, v74, 0
	v_add_co_u32_e32 v8, vcc, v60, v8
	v_addc_co_u32_e32 v9, vcc, v61, v9, vcc
	v_mov_b32_e32 v11, v24
	global_store_dwordx2 v[8:9], v[12:13], off
	v_lshlrev_b64 v[8:9], 3, v[10:11]
	v_mov_b32_e32 v10, v73
	v_mad_u64_u32 v[10:11], s[6:7], s9, v74, v[10:11]
	v_add_co_u32_e32 v8, vcc, v60, v8
	v_mov_b32_e32 v73, v10
	v_mad_u64_u32 v[10:11], s[6:7], s8, v75, 0
	v_addc_co_u32_e32 v9, vcc, v61, v9, vcc
	s_movk_i32 s10, 0x80
	global_store_dwordx2 v[8:9], v[14:15], off
	v_mad_u64_u32 v[11:12], s[6:7], s9, v75, v[11:12]
	v_and_or_b32 v14, v71, s10, v67
	v_lshlrev_b64 v[8:9], 3, v[72:73]
	v_mad_u64_u32 v[12:13], s[6:7], s8, v14, 0
	v_add_co_u32_e32 v8, vcc, v60, v8
	v_addc_co_u32_e32 v9, vcc, v61, v9, vcc
	global_store_dwordx2 v[8:9], v[16:17], off
	v_lshlrev_b64 v[8:9], 3, v[10:11]
	v_mov_b32_e32 v10, v13
	v_mad_u64_u32 v[10:11], s[6:7], s9, v14, v[10:11]
	v_add_co_u32_e32 v8, vcc, v60, v8
	v_addc_co_u32_e32 v9, vcc, v61, v9, vcc
	v_mov_b32_e32 v13, v10
	global_store_dwordx2 v[8:9], v[18:19], off
	v_lshlrev_b64 v[8:9], 3, v[12:13]
	v_add_u32_e32 v12, 64, v14
	v_mad_u64_u32 v[10:11], s[6:7], s8, v12, 0
	v_add_u32_e32 v14, 0x80, v14
	v_add_co_u32_e32 v8, vcc, v60, v8
	v_mad_u64_u32 v[11:12], s[6:7], s9, v12, v[11:12]
	v_mad_u64_u32 v[12:13], s[6:7], s8, v14, 0
	v_addc_co_u32_e32 v9, vcc, v61, v9, vcc
	global_store_dwordx2 v[8:9], v[20:21], off
	v_lshlrev_b64 v[8:9], 3, v[10:11]
	v_mov_b32_e32 v10, v13
	v_mad_u64_u32 v[10:11], s[6:7], s9, v14, v[10:11]
	v_and_or_b32 v14, v70, s10, v68
	v_add_co_u32_e32 v8, vcc, v60, v8
	v_mov_b32_e32 v13, v10
	v_mad_u64_u32 v[10:11], s[6:7], s8, v14, 0
	v_addc_co_u32_e32 v9, vcc, v61, v9, vcc
	global_store_dwordx2 v[8:9], v[22:23], off
	v_lshlrev_b64 v[8:9], 3, v[12:13]
	v_mad_u64_u32 v[11:12], s[6:7], s9, v14, v[11:12]
	v_add_u32_e32 v15, 64, v14
	v_mad_u64_u32 v[12:13], s[6:7], s8, v15, 0
	v_add_co_u32_e32 v8, vcc, v60, v8
	v_addc_co_u32_e32 v9, vcc, v61, v9, vcc
	global_store_dwordx2 v[8:9], v[32:33], off
	v_lshlrev_b64 v[8:9], 3, v[10:11]
	v_mov_b32_e32 v10, v13
	v_mad_u64_u32 v[10:11], s[6:7], s9, v15, v[10:11]
	v_add_co_u32_e32 v8, vcc, v60, v8
	v_addc_co_u32_e32 v9, vcc, v61, v9, vcc
	v_mov_b32_e32 v13, v10
	global_store_dwordx2 v[8:9], v[34:35], off
	v_lshlrev_b64 v[8:9], 3, v[12:13]
	v_add_u32_e32 v12, 0x80, v14
	v_mad_u64_u32 v[10:11], s[6:7], s8, v12, 0
	v_and_or_b32 v14, v69, s10, v65
	v_add_co_u32_e32 v8, vcc, v60, v8
	v_mad_u64_u32 v[11:12], s[6:7], s9, v12, v[11:12]
	v_mad_u64_u32 v[12:13], s[6:7], s8, v14, 0
	v_addc_co_u32_e32 v9, vcc, v61, v9, vcc
	global_store_dwordx2 v[8:9], v[36:37], off
	v_lshlrev_b64 v[8:9], 3, v[10:11]
	v_mov_b32_e32 v10, v13
	v_mad_u64_u32 v[10:11], s[6:7], s9, v14, v[10:11]
	v_add_co_u32_e32 v8, vcc, v60, v8
	v_addc_co_u32_e32 v9, vcc, v61, v9, vcc
	v_mov_b32_e32 v13, v10
	global_store_dwordx2 v[8:9], v[38:39], off
	v_lshlrev_b64 v[8:9], 3, v[12:13]
	v_add_u32_e32 v12, 64, v14
	v_mad_u64_u32 v[10:11], s[6:7], s8, v12, 0
	v_add_u32_e32 v14, 0x80, v14
	v_add_co_u32_e32 v8, vcc, v60, v8
	v_mad_u64_u32 v[11:12], s[6:7], s9, v12, v[11:12]
	v_mad_u64_u32 v[12:13], s[6:7], s8, v14, 0
	v_addc_co_u32_e32 v9, vcc, v61, v9, vcc
	global_store_dwordx2 v[8:9], v[30:31], off
	v_lshlrev_b64 v[8:9], 3, v[10:11]
	v_mov_b32_e32 v10, v13
	v_mad_u64_u32 v[10:11], s[6:7], s9, v14, v[10:11]
	v_add_co_u32_e32 v8, vcc, v60, v8
	v_addc_co_u32_e32 v9, vcc, v61, v9, vcc
	v_mov_b32_e32 v13, v10
	global_store_dwordx2 v[8:9], v[40:41], off
	v_lshlrev_b64 v[8:9], 3, v[12:13]
	s_andn2_b64 s[0:1], s[0:1], exec
	v_add_co_u32_e32 v8, vcc, v60, v8
	s_and_b64 s[2:3], s[2:3], exec
	v_addc_co_u32_e32 v9, vcc, v61, v9, vcc
	s_or_b64 s[0:1], s[0:1], s[2:3]
	global_store_dwordx2 v[8:9], v[42:43], off
.LBB0_21:
	s_or_b64 exec, exec, s[4:5]
.LBB0_22:
	s_and_saveexec_b64 s[2:3], s[0:1]
	s_cbranch_execnz .LBB0_24
; %bb.23:
	s_endpgm
.LBB0_24:
	v_mul_f32_e32 v8, v1, v5
	v_fma_f32 v8, v0, v4, -v8
	v_mul_f32_e32 v0, v0, v5
	v_fmac_f32_e32 v0, v1, v4
	v_mul_f32_e32 v1, v3, v7
	v_fma_f32 v1, v2, v6, -v1
	v_mul_f32_e32 v2, v2, v7
	v_add_f32_e32 v4, v8, v1
	v_fmac_f32_e32 v2, v3, v6
	v_add_f32_e32 v3, v26, v8
	v_fmac_f32_e32 v26, -0.5, v4
	v_sub_f32_e32 v4, v0, v2
	v_mov_b32_e32 v5, v26
	v_fmac_f32_e32 v5, 0x3f5db3d7, v4
	v_fmac_f32_e32 v26, 0xbf5db3d7, v4
	v_add_f32_e32 v4, v27, v0
	v_add_f32_e32 v0, v0, v2
	v_fmac_f32_e32 v27, -0.5, v0
	v_sub_f32_e32 v0, v8, v1
	v_mov_b32_e32 v6, v27
	v_fmac_f32_e32 v6, 0xbf5db3d7, v0
	v_fmac_f32_e32 v27, 0x3f5db3d7, v0
	s_waitcnt vmcnt(2)
	v_mul_f32_e32 v0, v29, v45
	v_add_f32_e32 v3, v3, v1
	v_fma_f32 v0, v28, v44, -v0
	v_mul_f32_e32 v1, v28, v45
	v_fmac_f32_e32 v1, v29, v44
	s_waitcnt vmcnt(1)
	v_mul_f32_e32 v7, v0, v47
	v_add_f32_e32 v4, v4, v2
	v_mul_f32_e32 v2, v1, v47
	v_fmac_f32_e32 v7, v46, v1
	v_fma_f32 v2, v46, v0, -v2
	v_mul_f32_e32 v0, v4, v7
	v_mul_f32_e32 v1, v3, v7
	v_fma_f32 v0, v3, v2, -v0
	v_fmac_f32_e32 v1, v4, v2
	v_mul_f32_e32 v2, v49, v53
	v_fma_f32 v2, v48, v52, -v2
	v_mul_f32_e32 v3, v48, v53
	v_fmac_f32_e32 v3, v49, v52
	v_mul_f32_e32 v7, v2, v51
	v_mul_f32_e32 v4, v3, v51
	v_fmac_f32_e32 v7, v50, v3
	v_fma_f32 v4, v50, v2, -v4
	v_mul_f32_e32 v2, v6, v7
	v_mul_f32_e32 v3, v5, v7
	;; [unrolled: 1-line block ×3, first 2 shown]
	v_fma_f32 v2, v5, v4, -v2
	v_fmac_f32_e32 v3, v6, v4
	v_mul_f32_e32 v4, v55, v59
	v_fmac_f32_e32 v7, v55, v58
	v_fma_f32 v6, v54, v58, -v4
	s_waitcnt vmcnt(0)
	v_mul_f32_e32 v4, v7, v57
	v_fma_f32 v8, v56, v6, -v4
	v_mad_u64_u32 v[4:5], s[0:1], s8, v64, 0
	v_mul_f32_e32 v9, v6, v57
	v_fmac_f32_e32 v9, v56, v7
	v_mul_f32_e32 v7, v27, v9
	v_mad_u64_u32 v[5:6], s[0:1], s9, v64, v[5:6]
	v_fma_f32 v6, v26, v8, -v7
	v_mul_f32_e32 v7, v26, v9
	v_add_u32_e32 v10, 0x7c, v62
	v_fmac_f32_e32 v7, v27, v8
	v_mad_u64_u32 v[8:9], s[0:1], s8, v10, 0
	v_add_u32_e32 v12, 0xbc, v62
	v_lshlrev_b64 v[4:5], 3, v[4:5]
	v_mad_u64_u32 v[9:10], s[0:1], s9, v10, v[9:10]
	v_mad_u64_u32 v[10:11], s[0:1], s8, v12, 0
	v_add_co_u32_e32 v4, vcc, v60, v4
	v_addc_co_u32_e32 v5, vcc, v61, v5, vcc
	global_store_dwordx2 v[4:5], v[0:1], off
	v_mov_b32_e32 v4, v11
	v_mad_u64_u32 v[4:5], s[0:1], s9, v12, v[4:5]
	v_lshlrev_b64 v[0:1], 3, v[8:9]
	v_add_co_u32_e32 v0, vcc, v60, v0
	v_addc_co_u32_e32 v1, vcc, v61, v1, vcc
	v_mov_b32_e32 v11, v4
	global_store_dwordx2 v[0:1], v[2:3], off
	v_lshlrev_b64 v[0:1], 3, v[10:11]
	v_add_co_u32_e32 v0, vcc, v60, v0
	v_addc_co_u32_e32 v1, vcc, v61, v1, vcc
	global_store_dwordx2 v[0:1], v[6:7], off
	s_endpgm
	.section	.rodata,"a",@progbits
	.p2align	6, 0x0
	.amdhsa_kernel fft_rtc_fwd_len192_factors_4_4_2_2_3_wgs_252_tpt_12_dim3_sp_ip_CI_sbcc_twdbase8_3step_dirReg
		.amdhsa_group_segment_fixed_size 0
		.amdhsa_private_segment_fixed_size 0
		.amdhsa_kernarg_size 88
		.amdhsa_user_sgpr_count 6
		.amdhsa_user_sgpr_private_segment_buffer 1
		.amdhsa_user_sgpr_dispatch_ptr 0
		.amdhsa_user_sgpr_queue_ptr 0
		.amdhsa_user_sgpr_kernarg_segment_ptr 1
		.amdhsa_user_sgpr_dispatch_id 0
		.amdhsa_user_sgpr_flat_scratch_init 0
		.amdhsa_user_sgpr_private_segment_size 0
		.amdhsa_uses_dynamic_stack 0
		.amdhsa_system_sgpr_private_segment_wavefront_offset 0
		.amdhsa_system_sgpr_workgroup_id_x 1
		.amdhsa_system_sgpr_workgroup_id_y 0
		.amdhsa_system_sgpr_workgroup_id_z 0
		.amdhsa_system_sgpr_workgroup_info 0
		.amdhsa_system_vgpr_workitem_id 0
		.amdhsa_next_free_vgpr 84
		.amdhsa_next_free_sgpr 26
		.amdhsa_reserve_vcc 1
		.amdhsa_reserve_flat_scratch 0
		.amdhsa_float_round_mode_32 0
		.amdhsa_float_round_mode_16_64 0
		.amdhsa_float_denorm_mode_32 3
		.amdhsa_float_denorm_mode_16_64 3
		.amdhsa_dx10_clamp 1
		.amdhsa_ieee_mode 1
		.amdhsa_fp16_overflow 0
		.amdhsa_exception_fp_ieee_invalid_op 0
		.amdhsa_exception_fp_denorm_src 0
		.amdhsa_exception_fp_ieee_div_zero 0
		.amdhsa_exception_fp_ieee_overflow 0
		.amdhsa_exception_fp_ieee_underflow 0
		.amdhsa_exception_fp_ieee_inexact 0
		.amdhsa_exception_int_div_zero 0
	.end_amdhsa_kernel
	.text
.Lfunc_end0:
	.size	fft_rtc_fwd_len192_factors_4_4_2_2_3_wgs_252_tpt_12_dim3_sp_ip_CI_sbcc_twdbase8_3step_dirReg, .Lfunc_end0-fft_rtc_fwd_len192_factors_4_4_2_2_3_wgs_252_tpt_12_dim3_sp_ip_CI_sbcc_twdbase8_3step_dirReg
                                        ; -- End function
	.section	.AMDGPU.csdata,"",@progbits
; Kernel info:
; codeLenInByte = 11700
; NumSgprs: 30
; NumVgprs: 84
; ScratchSize: 0
; MemoryBound: 0
; FloatMode: 240
; IeeeMode: 1
; LDSByteSize: 0 bytes/workgroup (compile time only)
; SGPRBlocks: 3
; VGPRBlocks: 20
; NumSGPRsForWavesPerEU: 30
; NumVGPRsForWavesPerEU: 84
; Occupancy: 3
; WaveLimiterHint : 1
; COMPUTE_PGM_RSRC2:SCRATCH_EN: 0
; COMPUTE_PGM_RSRC2:USER_SGPR: 6
; COMPUTE_PGM_RSRC2:TRAP_HANDLER: 0
; COMPUTE_PGM_RSRC2:TGID_X_EN: 1
; COMPUTE_PGM_RSRC2:TGID_Y_EN: 0
; COMPUTE_PGM_RSRC2:TGID_Z_EN: 0
; COMPUTE_PGM_RSRC2:TIDIG_COMP_CNT: 0
	.type	__hip_cuid_6c0ff4b329e7efca,@object ; @__hip_cuid_6c0ff4b329e7efca
	.section	.bss,"aw",@nobits
	.globl	__hip_cuid_6c0ff4b329e7efca
__hip_cuid_6c0ff4b329e7efca:
	.byte	0                               ; 0x0
	.size	__hip_cuid_6c0ff4b329e7efca, 1

	.ident	"AMD clang version 19.0.0git (https://github.com/RadeonOpenCompute/llvm-project roc-6.4.0 25133 c7fe45cf4b819c5991fe208aaa96edf142730f1d)"
	.section	".note.GNU-stack","",@progbits
	.addrsig
	.addrsig_sym __hip_cuid_6c0ff4b329e7efca
	.amdgpu_metadata
---
amdhsa.kernels:
  - .args:
      - .actual_access:  read_only
        .address_space:  global
        .offset:         0
        .size:           8
        .value_kind:     global_buffer
      - .address_space:  global
        .offset:         8
        .size:           8
        .value_kind:     global_buffer
      - .actual_access:  read_only
        .address_space:  global
        .offset:         16
        .size:           8
        .value_kind:     global_buffer
      - .actual_access:  read_only
        .address_space:  global
        .offset:         24
        .size:           8
        .value_kind:     global_buffer
      - .offset:         32
        .size:           8
        .value_kind:     by_value
      - .actual_access:  read_only
        .address_space:  global
        .offset:         40
        .size:           8
        .value_kind:     global_buffer
      - .actual_access:  read_only
        .address_space:  global
        .offset:         48
        .size:           8
        .value_kind:     global_buffer
      - .offset:         56
        .size:           4
        .value_kind:     by_value
      - .actual_access:  read_only
        .address_space:  global
        .offset:         64
        .size:           8
        .value_kind:     global_buffer
      - .actual_access:  read_only
        .address_space:  global
        .offset:         72
        .size:           8
        .value_kind:     global_buffer
      - .address_space:  global
        .offset:         80
        .size:           8
        .value_kind:     global_buffer
    .group_segment_fixed_size: 0
    .kernarg_segment_align: 8
    .kernarg_segment_size: 88
    .language:       OpenCL C
    .language_version:
      - 2
      - 0
    .max_flat_workgroup_size: 252
    .name:           fft_rtc_fwd_len192_factors_4_4_2_2_3_wgs_252_tpt_12_dim3_sp_ip_CI_sbcc_twdbase8_3step_dirReg
    .private_segment_fixed_size: 0
    .sgpr_count:     30
    .sgpr_spill_count: 0
    .symbol:         fft_rtc_fwd_len192_factors_4_4_2_2_3_wgs_252_tpt_12_dim3_sp_ip_CI_sbcc_twdbase8_3step_dirReg.kd
    .uniform_work_group_size: 1
    .uses_dynamic_stack: false
    .vgpr_count:     84
    .vgpr_spill_count: 0
    .wavefront_size: 64
amdhsa.target:   amdgcn-amd-amdhsa--gfx906
amdhsa.version:
  - 1
  - 2
...

	.end_amdgpu_metadata
